;; amdgpu-corpus repo=zjin-lcf/HeCBench kind=compiled arch=gfx1100 opt=O3
	.text
	.amdgcn_target "amdgcn-amd-amdhsa--gfx1100"
	.amdhsa_code_object_version 6
	.protected	_Z9hypterm_1PdS_S_S_S_PKdS1_S1_S1_S1_S1_S1_S1_dddiii ; -- Begin function _Z9hypterm_1PdS_S_S_S_PKdS1_S1_S1_S1_S1_S1_S1_dddiii
	.globl	_Z9hypterm_1PdS_S_S_S_PKdS1_S1_S1_S1_S1_S1_S1_dddiii
	.p2align	8
	.type	_Z9hypterm_1PdS_S_S_S_PKdS1_S1_S1_S1_S1_S1_S1_dddiii,@function
_Z9hypterm_1PdS_S_S_S_PKdS1_S1_S1_S1_S1_S1_S1_dddiii: ; @_Z9hypterm_1PdS_S_S_S_PKdS1_S1_S1_S1_S1_S1_S1_dddiii
; %bb.0:
	s_clause 0x1
	s_load_b64 s[2:3], s[0:1], 0x9c
	s_load_b64 s[16:17], s[0:1], 0x84
	v_and_b32_e32 v1, 0x3ff, v0
	v_bfe_u32 v2, v0, 10, 10
	v_bfe_u32 v3, v0, 20, 10
	s_waitcnt lgkmcnt(0)
	s_and_b32 s3, s3, 0xffff
	s_and_b32 s4, s2, 0xffff
	s_lshr_b32 s2, s2, 16
	s_mul_i32 s13, s13, s4
	s_mul_i32 s14, s14, s2
	;; [unrolled: 1-line block ×3, first 2 shown]
	s_max_i32 s2, s13, 0
	s_max_i32 s3, s14, 0
	;; [unrolled: 1-line block ×3, first 2 shown]
	v_add_nc_u32_e32 v0, s2, v1
	v_add_nc_u32_e32 v1, s3, v2
	v_add_nc_u32_e32 v2, s4, v3
	s_add_i32 s2, s17, -5
	s_delay_alu instid0(VALU_DEP_1) | instskip(SKIP_1) | instid1(VALU_DEP_2)
	v_min3_u32 v3, v0, v1, v2
	v_max3_i32 v4, v0, v1, v2
	v_cmp_lt_u32_e32 vcc_lo, 3, v3
	s_delay_alu instid0(VALU_DEP_2) | instskip(NEXT) | instid1(VALU_DEP_1)
	v_cmp_ge_i32_e64 s2, s2, v4
	s_and_b32 s2, s2, vcc_lo
	s_delay_alu instid0(SALU_CYCLE_1)
	s_and_saveexec_b32 s3, s2
	s_cbranch_execz .LBB0_2
; %bb.1:
	v_mad_u64_u32 v[3:4], null, v2, s16, v[1:2]
	s_clause 0x1
	s_load_b256 s[4:11], s[0:1], 0x20
	s_load_b128 s[12:15], s[0:1], 0x40
	s_brev_b32 s2, 5
	s_mov_b32 s3, 0x3fc99999
	s_delay_alu instid0(VALU_DEP_1) | instskip(SKIP_1) | instid1(VALU_DEP_1)
	v_mad_u64_u32 v[1:2], null, v3, s17, v[0:1]
	s_load_b256 s[16:23], s[0:1], 0x0
	v_ashrrev_i32_e32 v2, 31, v1
	s_delay_alu instid0(VALU_DEP_1) | instskip(SKIP_1) | instid1(VALU_DEP_1)
	v_lshlrev_b64 v[0:1], 3, v[1:2]
	s_waitcnt lgkmcnt(0)
	v_add_co_u32 v62, vcc_lo, s6, v0
	s_delay_alu instid0(VALU_DEP_2)
	v_add_co_ci_u32_e32 v63, vcc_lo, s7, v1, vcc_lo
	v_add_co_u32 v74, vcc_lo, s14, v0
	v_add_co_ci_u32_e32 v75, vcc_lo, s15, v1, vcc_lo
	v_add_co_u32 v76, vcc_lo, s12, v0
	v_add_co_ci_u32_e32 v77, vcc_lo, s13, v1, vcc_lo
	global_load_b128 v[2:5], v[62:63], off offset:-16
	global_load_b128 v[6:9], v[74:75], off offset:-16
	s_load_b128 s[12:15], s[0:1], 0x60
	v_add_co_u32 v78, vcc_lo, s8, v0
	global_load_b128 v[10:13], v[76:77], off offset:-16
	v_add_co_ci_u32_e32 v79, vcc_lo, s9, v1, vcc_lo
	v_add_co_u32 v80, vcc_lo, s10, v0
	v_add_co_ci_u32_e32 v81, vcc_lo, s11, v1, vcc_lo
	global_load_b128 v[14:17], v[62:63], off offset:8
	global_load_b128 v[18:21], v[74:75], off offset:8
	s_waitcnt lgkmcnt(0)
	v_add_co_u32 v66, vcc_lo, s12, v0
	v_add_co_ci_u32_e32 v67, vcc_lo, s13, v1, vcc_lo
	global_load_b128 v[22:25], v[78:79], off offset:-16
	global_load_b128 v[26:29], v[80:81], off offset:-16
	;; [unrolled: 1-line block ×3, first 2 shown]
	global_load_b128 v[34:37], v[76:77], off offset:8
	global_load_b128 v[38:41], v[66:67], off offset:8
	global_load_b128 v[42:45], v[62:63], off offset:-32
	global_load_b128 v[46:49], v[74:75], off offset:-32
	;; [unrolled: 1-line block ×3, first 2 shown]
	s_waitcnt vmcnt(11)
	v_mul_f64 v[82:83], v[4:5], v[8:9]
	v_mul_f64 v[84:85], v[2:3], v[6:7]
	s_waitcnt vmcnt(10)
	v_mul_f64 v[86:87], v[8:9], v[12:13]
	v_mul_f64 v[88:89], v[6:7], v[10:11]
	global_load_b128 v[10:13], v[66:67], off offset:-32
	global_load_b128 v[54:57], v[78:79], off offset:8
	global_load_b128 v[58:61], v[80:81], off offset:8
	;; [unrolled: 1-line block ×4, first 2 shown]
	global_load_b128 v[70:73], v[78:79], off offset:-32
	s_waitcnt vmcnt(15)
	v_add_f64 v[90:91], v[14:15], -v[4:5]
	v_add_f64 v[92:93], v[16:17], -v[2:3]
	global_load_b128 v[2:5], v[80:81], off offset:-32
	s_waitcnt vmcnt(14)
	v_mul_f64 v[94:95], v[8:9], v[24:25]
	s_waitcnt vmcnt(13)
	v_mul_f64 v[98:99], v[8:9], v[28:29]
	v_mul_f64 v[100:101], v[6:7], v[26:27]
	s_waitcnt vmcnt(12)
	v_mul_f64 v[26:27], v[8:9], v[32:33]
	v_mul_f64 v[28:29], v[6:7], v[30:31]
	;; [unrolled: 1-line block ×3, first 2 shown]
	global_load_b128 v[6:9], v[74:75], off offset:24
	s_waitcnt vmcnt(11)
	v_add_f64 v[32:33], v[38:39], -v[32:33]
	v_add_f64 v[30:31], v[40:41], -v[30:31]
	global_load_b128 v[22:25], v[78:79], off offset:24
	s_waitcnt vmcnt(9)
	v_mul_f64 v[52:53], v[48:49], v[52:53]
	v_mul_f64 v[74:75], v[44:45], v[48:49]
	v_fma_f64 v[82:83], v[14:15], v[18:19], -v[82:83]
	v_fma_f64 v[84:85], v[16:17], v[20:21], -v[84:85]
	global_load_b128 v[14:17], v[76:77], off offset:24
	v_fma_f64 v[34:35], v[18:19], v[34:35], -v[86:87]
	v_fma_f64 v[36:37], v[20:21], v[36:37], -v[88:89]
	;; [unrolled: 1-line block ×4, first 2 shown]
	global_load_b128 v[26:29], v[80:81], off offset:24
	v_add_f64 v[32:33], v[82:83], v[32:33]
	v_add_f64 v[30:31], v[84:85], v[30:31]
	;; [unrolled: 1-line block ×4, first 2 shown]
	s_delay_alu instid0(VALU_DEP_3) | instskip(NEXT) | instid1(VALU_DEP_2)
	v_mul_f64 v[30:31], v[30:31], s[2:3]
	v_mul_f64 v[36:37], v[36:37], s[2:3]
	s_waitcnt vmcnt(10)
	v_mul_f64 v[40:41], v[48:49], v[12:13]
	s_waitcnt vmcnt(9)
	v_fma_f64 v[56:57], v[20:21], v[56:57], -v[96:97]
	s_waitcnt vmcnt(8)
	v_fma_f64 v[20:21], v[20:21], v[60:61], -v[100:101]
	v_fma_f64 v[54:55], v[18:19], v[54:55], -v[94:95]
	v_mul_f64 v[60:61], v[42:43], v[46:47]
	v_fma_f64 v[18:19], v[18:19], v[58:59], -v[98:99]
	s_waitcnt vmcnt(5)
	v_mul_f64 v[58:59], v[48:49], v[72:73]
	v_mul_f64 v[72:73], v[92:93], s[2:3]
	v_add_f64 v[12:13], v[66:67], -v[12:13]
	v_add_f64 v[38:39], v[62:63], -v[44:45]
	v_mul_f64 v[44:45], v[46:47], v[70:71]
	s_waitcnt vmcnt(4)
	v_mul_f64 v[4:5], v[48:49], v[4:5]
	v_mul_f64 v[48:49], v[46:47], v[50:51]
	;; [unrolled: 1-line block ×3, first 2 shown]
	v_add_f64 v[10:11], v[68:69], -v[10:11]
	v_mul_f64 v[2:3], v[46:47], v[2:3]
	s_waitcnt vmcnt(3)
	v_fma_f64 v[74:75], v[62:63], v[6:7], -v[74:75]
	v_fma_f64 v[40:41], v[6:7], v[66:67], -v[40:41]
	s_waitcnt vmcnt(1)
	v_fma_f64 v[14:15], v[6:7], v[14:15], -v[52:53]
	v_mul_f64 v[52:53], v[56:57], s[2:3]
	v_mul_f64 v[20:21], v[20:21], s[2:3]
	s_mov_b32 s3, 0x3fe99999
	v_fma_f64 v[46:47], v[64:65], v[8:9], -v[60:61]
	v_fma_f64 v[22:23], v[6:7], v[22:23], -v[58:59]
	v_fma_f64 v[24:25], v[8:9], v[24:25], -v[44:45]
	s_waitcnt vmcnt(0)
	v_fma_f64 v[4:5], v[6:7], v[26:27], -v[4:5]
	v_fma_f64 v[26:27], v[90:91], s[2:3], -v[72:73]
	;; [unrolled: 1-line block ×4, first 2 shown]
	v_add_f64 v[12:13], v[74:75], v[12:13]
	v_fma_f64 v[2:3], v[8:9], v[28:29], -v[2:3]
	v_add_f64 v[14:15], v[40:41], v[14:15]
	v_fma_f64 v[40:41], v[54:55], s[2:3], -v[52:53]
	v_fma_f64 v[18:19], v[18:19], s[2:3], -v[20:21]
	;; [unrolled: 1-line block ×4, first 2 shown]
	s_brev_b32 s2, 6
	s_mov_b32 s3, 0x3fa374bc
	v_add_f64 v[32:33], v[64:65], -v[42:43]
	v_add_f64 v[8:9], v[46:47], v[10:11]
	v_fma_f64 v[10:11], v[38:39], s[2:3], v[26:27]
	v_add_f64 v[6:7], v[16:17], v[6:7]
	v_fma_f64 v[16:17], v[22:23], s[2:3], v[40:41]
	v_fma_f64 v[4:5], v[4:5], s[2:3], v[18:19]
	;; [unrolled: 1-line block ×4, first 2 shown]
	s_mov_b32 s2, 2.0
	s_mov_b32 s3, 0xbf6cac08
	s_delay_alu instid0(SALU_CYCLE_1)
	v_fma_f64 v[10:11], v[32:33], s[2:3], v[10:11]
	v_fma_f64 v[16:17], v[24:25], s[2:3], v[16:17]
	;; [unrolled: 1-line block ×5, first 2 shown]
	v_add_co_u32 v12, vcc_lo, s16, v0
	v_add_co_ci_u32_e32 v13, vcc_lo, s17, v1, vcc_lo
	v_add_co_u32 v14, vcc_lo, s18, v0
	v_add_co_ci_u32_e32 v15, vcc_lo, s19, v1, vcc_lo
	v_mul_f64 v[8:9], -v[10:11], s[14:15]
	v_mul_f64 v[10:11], -v[16:17], s[14:15]
	;; [unrolled: 1-line block ×5, first 2 shown]
	v_add_co_u32 v16, vcc_lo, s20, v0
	v_add_co_ci_u32_e32 v17, vcc_lo, s21, v1, vcc_lo
	v_add_co_u32 v18, vcc_lo, s22, v0
	v_add_co_ci_u32_e32 v19, vcc_lo, s23, v1, vcc_lo
	v_add_co_u32 v0, vcc_lo, s4, v0
	v_add_co_ci_u32_e32 v1, vcc_lo, s5, v1, vcc_lo
	global_store_b64 v[12:13], v[8:9], off
	global_store_b64 v[16:17], v[10:11], off
	;; [unrolled: 1-line block ×5, first 2 shown]
.LBB0_2:
	s_nop 0
	s_sendmsg sendmsg(MSG_DEALLOC_VGPRS)
	s_endpgm
	.section	.rodata,"a",@progbits
	.p2align	6, 0x0
	.amdhsa_kernel _Z9hypterm_1PdS_S_S_S_PKdS1_S1_S1_S1_S1_S1_S1_dddiii
		.amdhsa_group_segment_fixed_size 0
		.amdhsa_private_segment_fixed_size 0
		.amdhsa_kernarg_size 400
		.amdhsa_user_sgpr_count 13
		.amdhsa_user_sgpr_dispatch_ptr 0
		.amdhsa_user_sgpr_queue_ptr 0
		.amdhsa_user_sgpr_kernarg_segment_ptr 1
		.amdhsa_user_sgpr_dispatch_id 0
		.amdhsa_user_sgpr_private_segment_size 0
		.amdhsa_wavefront_size32 1
		.amdhsa_uses_dynamic_stack 0
		.amdhsa_enable_private_segment 0
		.amdhsa_system_sgpr_workgroup_id_x 1
		.amdhsa_system_sgpr_workgroup_id_y 1
		.amdhsa_system_sgpr_workgroup_id_z 1
		.amdhsa_system_sgpr_workgroup_info 0
		.amdhsa_system_vgpr_workitem_id 2
		.amdhsa_next_free_vgpr 102
		.amdhsa_next_free_sgpr 24
		.amdhsa_reserve_vcc 1
		.amdhsa_float_round_mode_32 0
		.amdhsa_float_round_mode_16_64 0
		.amdhsa_float_denorm_mode_32 3
		.amdhsa_float_denorm_mode_16_64 3
		.amdhsa_dx10_clamp 1
		.amdhsa_ieee_mode 1
		.amdhsa_fp16_overflow 0
		.amdhsa_workgroup_processor_mode 1
		.amdhsa_memory_ordered 1
		.amdhsa_forward_progress 0
		.amdhsa_shared_vgpr_count 0
		.amdhsa_exception_fp_ieee_invalid_op 0
		.amdhsa_exception_fp_denorm_src 0
		.amdhsa_exception_fp_ieee_div_zero 0
		.amdhsa_exception_fp_ieee_overflow 0
		.amdhsa_exception_fp_ieee_underflow 0
		.amdhsa_exception_fp_ieee_inexact 0
		.amdhsa_exception_int_div_zero 0
	.end_amdhsa_kernel
	.text
.Lfunc_end0:
	.size	_Z9hypterm_1PdS_S_S_S_PKdS1_S1_S1_S1_S1_S1_S1_dddiii, .Lfunc_end0-_Z9hypterm_1PdS_S_S_S_PKdS1_S1_S1_S1_S1_S1_S1_dddiii
                                        ; -- End function
	.section	.AMDGPU.csdata,"",@progbits
; Kernel info:
; codeLenInByte = 1384
; NumSgprs: 26
; NumVgprs: 102
; ScratchSize: 0
; MemoryBound: 0
; FloatMode: 240
; IeeeMode: 1
; LDSByteSize: 0 bytes/workgroup (compile time only)
; SGPRBlocks: 3
; VGPRBlocks: 12
; NumSGPRsForWavesPerEU: 26
; NumVGPRsForWavesPerEU: 102
; Occupancy: 12
; WaveLimiterHint : 0
; COMPUTE_PGM_RSRC2:SCRATCH_EN: 0
; COMPUTE_PGM_RSRC2:USER_SGPR: 13
; COMPUTE_PGM_RSRC2:TRAP_HANDLER: 0
; COMPUTE_PGM_RSRC2:TGID_X_EN: 1
; COMPUTE_PGM_RSRC2:TGID_Y_EN: 1
; COMPUTE_PGM_RSRC2:TGID_Z_EN: 1
; COMPUTE_PGM_RSRC2:TIDIG_COMP_CNT: 2
	.text
	.protected	_Z9hypterm_2PdS_S_S_S_PKdS1_S1_S1_S1_S1_S1_S1_dddiii ; -- Begin function _Z9hypterm_2PdS_S_S_S_PKdS1_S1_S1_S1_S1_S1_S1_dddiii
	.globl	_Z9hypterm_2PdS_S_S_S_PKdS1_S1_S1_S1_S1_S1_S1_dddiii
	.p2align	8
	.type	_Z9hypterm_2PdS_S_S_S_PKdS1_S1_S1_S1_S1_S1_S1_dddiii,@function
_Z9hypterm_2PdS_S_S_S_PKdS1_S1_S1_S1_S1_S1_S1_dddiii: ; @_Z9hypterm_2PdS_S_S_S_PKdS1_S1_S1_S1_S1_S1_S1_dddiii
; %bb.0:
	s_clause 0x1
	s_load_b64 s[2:3], s[0:1], 0x9c
	s_load_b64 s[26:27], s[0:1], 0x84
	v_and_b32_e32 v1, 0x3ff, v0
	v_bfe_u32 v3, v0, 10, 10
	v_bfe_u32 v0, v0, 20, 10
	s_waitcnt lgkmcnt(0)
	s_and_b32 s3, s3, 0xffff
	s_and_b32 s4, s2, 0xffff
	s_lshr_b32 s2, s2, 16
	s_mul_i32 s13, s13, s4
	s_mul_i32 s14, s14, s2
	;; [unrolled: 1-line block ×3, first 2 shown]
	s_max_i32 s2, s13, 0
	s_max_i32 s3, s14, 0
	;; [unrolled: 1-line block ×3, first 2 shown]
	v_add_nc_u32_e32 v2, s2, v1
	v_add_nc_u32_e32 v3, s3, v3
	v_add_nc_u32_e32 v0, s4, v0
	s_add_i32 s2, s27, -5
	s_delay_alu instid0(VALU_DEP_1) | instskip(SKIP_1) | instid1(VALU_DEP_2)
	v_min3_u32 v1, v2, v3, v0
	v_max3_i32 v4, v2, v3, v0
	v_cmp_lt_u32_e32 vcc_lo, 3, v1
	s_delay_alu instid0(VALU_DEP_2) | instskip(NEXT) | instid1(VALU_DEP_1)
	v_cmp_ge_i32_e64 s2, s2, v4
	s_and_b32 s2, s2, vcc_lo
	s_delay_alu instid0(SALU_CYCLE_1)
	s_and_saveexec_b32 s3, s2
	s_cbranch_execz .LBB1_2
; %bb.1:
	v_mul_lo_u32 v4, v0, s26
	s_clause 0x5
	s_load_b64 s[24:25], s[0:1], 0x60
	s_load_b128 s[20:23], s[0:1], 0x50
	s_load_b64 s[28:29], s[0:1], 0x40
	s_load_b256 s[12:19], s[0:1], 0x0
	s_load_b256 s[4:11], s[0:1], 0x20
	s_load_b128 s[0:3], s[0:1], 0x70
	s_brev_b32 s34, 5
	s_mov_b32 s35, 0x3fc99999
	s_mov_b32 s37, 0x3fe99999
	;; [unrolled: 1-line block ×3, first 2 shown]
	s_brev_b32 s30, 6
	s_mov_b32 s31, 0x3fa374bc
	v_add_nc_u32_e32 v35, v4, v3
	s_delay_alu instid0(VALU_DEP_1) | instskip(SKIP_1) | instid1(VALU_DEP_1)
	v_mad_u64_u32 v[0:1], null, v35, s27, v[2:3]
	v_add_nc_u32_e32 v1, -1, v35
	v_mad_u64_u32 v[9:10], null, v1, s27, v[2:3]
	v_add_nc_u32_e32 v1, 2, v35
	s_delay_alu instid0(VALU_DEP_4) | instskip(NEXT) | instid1(VALU_DEP_2)
	v_add_nc_u32_e32 v5, s27, v0
	v_mad_u64_u32 v[15:16], null, v1, s27, v[2:3]
	v_add_nc_u32_e32 v1, -2, v35
	s_delay_alu instid0(VALU_DEP_3) | instskip(SKIP_1) | instid1(VALU_DEP_3)
	v_ashrrev_i32_e32 v6, 31, v5
	v_ashrrev_i32_e32 v10, 31, v9
	v_mad_u64_u32 v[19:20], null, v1, s27, v[2:3]
	s_delay_alu instid0(VALU_DEP_3) | instskip(SKIP_1) | instid1(VALU_DEP_4)
	v_lshlrev_b64 v[5:6], 3, v[5:6]
	v_ashrrev_i32_e32 v16, 31, v15
	v_lshlrev_b64 v[9:10], 3, v[9:10]
	v_add_nc_u32_e32 v1, 3, v35
	v_ashrrev_i32_e32 v20, 31, v19
	s_waitcnt lgkmcnt(0)
	v_add_co_u32 v7, vcc_lo, s8, v5
	v_lshlrev_b64 v[15:16], 3, v[15:16]
	v_add_co_ci_u32_e32 v8, vcc_lo, s9, v6, vcc_lo
	v_add_co_u32 v11, vcc_lo, s8, v9
	v_lshlrev_b64 v[19:20], 3, v[19:20]
	v_add_co_ci_u32_e32 v12, vcc_lo, s9, v10, vcc_lo
	v_add_co_u32 v17, vcc_lo, s8, v15
	v_add_co_ci_u32_e32 v18, vcc_lo, s9, v16, vcc_lo
	s_delay_alu instid0(VALU_DEP_4)
	v_add_co_u32 v21, vcc_lo, s8, v19
	v_add_co_ci_u32_e32 v22, vcc_lo, s9, v20, vcc_lo
	s_clause 0x3
	global_load_b64 v[7:8], v[7:8], off
	global_load_b64 v[11:12], v[11:12], off
	;; [unrolled: 1-line block ×4, first 2 shown]
	s_waitcnt vmcnt(2)
	v_add_f64 v[13:14], v[7:8], -v[11:12]
	s_waitcnt vmcnt(0)
	v_add_f64 v[23:24], v[17:18], -v[21:22]
	s_delay_alu instid0(VALU_DEP_1) | instskip(NEXT) | instid1(VALU_DEP_1)
	v_mul_f64 v[23:24], v[23:24], s[34:35]
	v_fma_f64 v[13:14], v[13:14], s[36:37], -v[23:24]
	v_mad_u64_u32 v[23:24], null, v1, s27, v[2:3]
	v_add_nc_u32_e32 v1, -3, v35
	s_delay_alu instid0(VALU_DEP_1) | instskip(NEXT) | instid1(VALU_DEP_3)
	v_mad_u64_u32 v[27:28], null, v1, s27, v[2:3]
	v_ashrrev_i32_e32 v24, 31, v23
	v_add_nc_u32_e32 v1, 4, v35
	s_delay_alu instid0(VALU_DEP_2) | instskip(NEXT) | instid1(VALU_DEP_4)
	v_lshlrev_b64 v[23:24], 3, v[23:24]
	v_ashrrev_i32_e32 v28, 31, v27
	s_delay_alu instid0(VALU_DEP_1) | instskip(NEXT) | instid1(VALU_DEP_3)
	v_lshlrev_b64 v[27:28], 3, v[27:28]
	v_add_co_u32 v25, vcc_lo, s8, v23
	s_delay_alu instid0(VALU_DEP_4) | instskip(NEXT) | instid1(VALU_DEP_3)
	v_add_co_ci_u32_e32 v26, vcc_lo, s9, v24, vcc_lo
	v_add_co_u32 v29, vcc_lo, s8, v27
	s_delay_alu instid0(VALU_DEP_4)
	v_add_co_ci_u32_e32 v30, vcc_lo, s9, v28, vcc_lo
	s_clause 0x1
	global_load_b64 v[25:26], v[25:26], off
	global_load_b64 v[29:30], v[29:30], off
	s_waitcnt vmcnt(0)
	v_add_f64 v[31:32], v[25:26], -v[29:30]
	s_delay_alu instid0(VALU_DEP_1) | instskip(SKIP_2) | instid1(VALU_DEP_1)
	v_fma_f64 v[13:14], v[31:32], s[30:31], v[13:14]
	v_mad_u64_u32 v[31:32], null, v1, s27, v[2:3]
	v_add_nc_u32_e32 v1, -4, v35
	v_mad_u64_u32 v[35:36], null, v1, s27, v[2:3]
	s_delay_alu instid0(VALU_DEP_3) | instskip(SKIP_1) | instid1(VALU_DEP_2)
	v_ashrrev_i32_e32 v32, 31, v31
	v_ashrrev_i32_e32 v1, 31, v0
	v_lshlrev_b64 v[31:32], 3, v[31:32]
	s_delay_alu instid0(VALU_DEP_4) | instskip(NEXT) | instid1(VALU_DEP_3)
	v_ashrrev_i32_e32 v36, 31, v35
	v_lshlrev_b64 v[0:1], 3, v[0:1]
	s_delay_alu instid0(VALU_DEP_2) | instskip(NEXT) | instid1(VALU_DEP_4)
	v_lshlrev_b64 v[35:36], 3, v[35:36]
	v_add_co_u32 v33, vcc_lo, s8, v31
	v_add_co_ci_u32_e32 v34, vcc_lo, s9, v32, vcc_lo
	s_delay_alu instid0(VALU_DEP_3) | instskip(NEXT) | instid1(VALU_DEP_4)
	v_add_co_u32 v37, vcc_lo, s8, v35
	v_add_co_ci_u32_e32 v38, vcc_lo, s9, v36, vcc_lo
	global_load_b64 v[33:34], v[33:34], off
	s_mov_b32 s8, 2.0
	s_mov_b32 s9, 0xbf6cac08
	global_load_b64 v[37:38], v[37:38], off
	s_waitcnt vmcnt(0)
	v_add_f64 v[39:40], v[33:34], -v[37:38]
	s_delay_alu instid0(VALU_DEP_1)
	v_fma_f64 v[13:14], v[39:40], s[8:9], v[13:14]
	v_add_co_u32 v39, vcc_lo, s12, v0
	v_add_co_ci_u32_e32 v40, vcc_lo, s13, v1, vcc_lo
	global_load_b64 v[41:42], v[39:40], off
	s_waitcnt vmcnt(0)
	v_fma_f64 v[13:14], -v[13:14], s[0:1], v[41:42]
	global_store_b64 v[39:40], v[13:14], off
	v_add_co_u32 v13, vcc_lo, s6, v5
	v_add_co_ci_u32_e32 v14, vcc_lo, s7, v6, vcc_lo
	v_add_co_u32 v39, vcc_lo, s20, v5
	v_add_co_ci_u32_e32 v40, vcc_lo, s21, v6, vcc_lo
	;; [unrolled: 2-line block ×4, first 2 shown]
	s_clause 0x1
	global_load_b64 v[41:42], v[41:42], off
	global_load_b64 v[13:14], v[13:14], off
	s_clause 0x1
	global_load_b64 v[39:40], v[39:40], off
	global_load_b64 v[43:44], v[43:44], off
	s_waitcnt vmcnt(0)
	v_mul_f64 v[41:42], v[41:42], v[43:44]
	v_mul_f64 v[11:12], v[11:12], v[43:44]
	s_delay_alu instid0(VALU_DEP_2)
	v_fma_f64 v[13:14], v[13:14], v[39:40], -v[41:42]
	v_add_co_u32 v41, vcc_lo, s6, v15
	v_add_co_ci_u32_e32 v42, vcc_lo, s7, v16, vcc_lo
	v_add_co_u32 v45, vcc_lo, s20, v15
	v_add_co_ci_u32_e32 v46, vcc_lo, s21, v16, vcc_lo
	;; [unrolled: 2-line block ×4, first 2 shown]
	s_clause 0x1
	global_load_b64 v[47:48], v[47:48], off
	global_load_b64 v[41:42], v[41:42], off
	s_clause 0x1
	global_load_b64 v[45:46], v[45:46], off
	global_load_b64 v[49:50], v[49:50], off
	v_fma_f64 v[7:8], v[7:8], v[39:40], -v[11:12]
	s_waitcnt vmcnt(0)
	v_mul_f64 v[47:48], v[47:48], v[49:50]
	s_delay_alu instid0(VALU_DEP_1) | instskip(NEXT) | instid1(VALU_DEP_1)
	v_fma_f64 v[41:42], v[41:42], v[45:46], -v[47:48]
	v_mul_f64 v[41:42], v[41:42], s[34:35]
	s_delay_alu instid0(VALU_DEP_1)
	v_fma_f64 v[13:14], v[13:14], s[36:37], -v[41:42]
	v_add_co_u32 v41, vcc_lo, s6, v23
	v_add_co_ci_u32_e32 v42, vcc_lo, s7, v24, vcc_lo
	v_add_co_u32 v47, vcc_lo, s20, v23
	v_add_co_ci_u32_e32 v48, vcc_lo, s21, v24, vcc_lo
	;; [unrolled: 2-line block ×4, first 2 shown]
	s_clause 0x1
	global_load_b64 v[51:52], v[51:52], off
	global_load_b64 v[41:42], v[41:42], off
	s_clause 0x1
	global_load_b64 v[47:48], v[47:48], off
	global_load_b64 v[53:54], v[53:54], off
	s_waitcnt vmcnt(0)
	v_mul_f64 v[51:52], v[51:52], v[53:54]
	s_delay_alu instid0(VALU_DEP_1) | instskip(NEXT) | instid1(VALU_DEP_1)
	v_fma_f64 v[41:42], v[41:42], v[47:48], -v[51:52]
	v_fma_f64 v[13:14], v[41:42], s[30:31], v[13:14]
	v_add_co_u32 v41, vcc_lo, s6, v31
	v_add_co_ci_u32_e32 v42, vcc_lo, s7, v32, vcc_lo
	v_add_co_u32 v51, vcc_lo, s20, v31
	v_add_co_ci_u32_e32 v52, vcc_lo, s21, v32, vcc_lo
	;; [unrolled: 2-line block ×4, first 2 shown]
	s_clause 0x1
	global_load_b64 v[55:56], v[55:56], off
	global_load_b64 v[41:42], v[41:42], off
	s_clause 0x1
	global_load_b64 v[51:52], v[51:52], off
	global_load_b64 v[57:58], v[57:58], off
	s_waitcnt vmcnt(0)
	v_mul_f64 v[55:56], v[55:56], v[57:58]
	s_delay_alu instid0(VALU_DEP_1) | instskip(NEXT) | instid1(VALU_DEP_1)
	v_fma_f64 v[41:42], v[41:42], v[51:52], -v[55:56]
	v_fma_f64 v[13:14], v[41:42], s[8:9], v[13:14]
	v_add_co_u32 v41, vcc_lo, s14, v0
	v_add_co_ci_u32_e32 v42, vcc_lo, s15, v1, vcc_lo
	v_add_co_u32 v11, vcc_lo, s24, v5
	v_add_co_ci_u32_e32 v12, vcc_lo, s25, v6, vcc_lo
	global_load_b64 v[55:56], v[41:42], off
	global_load_b64 v[11:12], v[11:12], off
	s_waitcnt vmcnt(1)
	v_fma_f64 v[13:14], -v[13:14], s[0:1], v[55:56]
	global_store_b64 v[41:42], v[13:14], off
	v_add_co_u32 v13, vcc_lo, s24, v9
	v_add_co_ci_u32_e32 v14, vcc_lo, s25, v10, vcc_lo
	global_load_b64 v[13:14], v[13:14], off
	s_waitcnt vmcnt(0)
	v_add_f64 v[11:12], v[11:12], -v[13:14]
	v_add_co_u32 v13, vcc_lo, s24, v15
	v_add_co_ci_u32_e32 v14, vcc_lo, s25, v16, vcc_lo
	global_load_b64 v[13:14], v[13:14], off
	v_add_f64 v[7:8], v[7:8], v[11:12]
	v_mul_f64 v[11:12], v[21:22], v[49:50]
	s_delay_alu instid0(VALU_DEP_1)
	v_fma_f64 v[11:12], v[17:18], v[45:46], -v[11:12]
	v_add_co_u32 v17, vcc_lo, s24, v19
	v_add_co_ci_u32_e32 v18, vcc_lo, s25, v20, vcc_lo
	global_load_b64 v[17:18], v[17:18], off
	s_waitcnt vmcnt(0)
	v_add_f64 v[13:14], v[13:14], -v[17:18]
	s_delay_alu instid0(VALU_DEP_1)
	v_add_f64 v[11:12], v[11:12], v[13:14]
	v_add_co_u32 v13, vcc_lo, s24, v23
	v_add_co_ci_u32_e32 v14, vcc_lo, s25, v24, vcc_lo
	v_add_co_u32 v17, vcc_lo, s24, v27
	v_add_co_ci_u32_e32 v18, vcc_lo, s25, v28, vcc_lo
	s_clause 0x1
	global_load_b64 v[13:14], v[13:14], off
	global_load_b64 v[17:18], v[17:18], off
	v_mul_f64 v[11:12], v[11:12], s[34:35]
	s_delay_alu instid0(VALU_DEP_1) | instskip(SKIP_1) | instid1(VALU_DEP_1)
	v_fma_f64 v[7:8], v[7:8], s[36:37], -v[11:12]
	v_mul_f64 v[11:12], v[29:30], v[53:54]
	v_fma_f64 v[11:12], v[25:26], v[47:48], -v[11:12]
	s_waitcnt vmcnt(0)
	v_add_f64 v[13:14], v[13:14], -v[17:18]
	s_delay_alu instid0(VALU_DEP_1)
	v_add_f64 v[11:12], v[11:12], v[13:14]
	v_add_co_u32 v13, vcc_lo, s24, v31
	v_add_co_ci_u32_e32 v14, vcc_lo, s25, v32, vcc_lo
	v_add_co_u32 v17, vcc_lo, s24, v35
	v_add_co_ci_u32_e32 v18, vcc_lo, s25, v36, vcc_lo
	s_clause 0x1
	global_load_b64 v[13:14], v[13:14], off
	global_load_b64 v[17:18], v[17:18], off
	v_fma_f64 v[7:8], v[11:12], s[30:31], v[7:8]
	v_mul_f64 v[11:12], v[37:38], v[57:58]
	s_delay_alu instid0(VALU_DEP_1) | instskip(SKIP_2) | instid1(VALU_DEP_1)
	v_fma_f64 v[11:12], v[33:34], v[51:52], -v[11:12]
	s_waitcnt vmcnt(0)
	v_add_f64 v[13:14], v[13:14], -v[17:18]
	v_add_f64 v[11:12], v[11:12], v[13:14]
	s_delay_alu instid0(VALU_DEP_1)
	v_fma_f64 v[7:8], v[11:12], s[8:9], v[7:8]
	v_add_co_u32 v11, vcc_lo, s16, v0
	v_add_co_ci_u32_e32 v12, vcc_lo, s17, v1, vcc_lo
	v_add_co_u32 v5, vcc_lo, s10, v5
	v_add_co_ci_u32_e32 v6, vcc_lo, s11, v6, vcc_lo
	global_load_b64 v[13:14], v[11:12], off
	global_load_b64 v[5:6], v[5:6], off
	s_waitcnt vmcnt(1)
	v_fma_f64 v[7:8], -v[7:8], s[0:1], v[13:14]
	global_store_b64 v[11:12], v[7:8], off
	v_add_co_u32 v7, vcc_lo, s10, v9
	v_add_co_ci_u32_e32 v8, vcc_lo, s11, v10, vcc_lo
	global_load_b64 v[7:8], v[7:8], off
	s_waitcnt vmcnt(0)
	v_mul_f64 v[7:8], v[43:44], v[7:8]
	s_delay_alu instid0(VALU_DEP_1)
	v_fma_f64 v[5:6], v[39:40], v[5:6], -v[7:8]
	v_add_co_u32 v7, vcc_lo, s10, v15
	v_add_co_ci_u32_e32 v8, vcc_lo, s11, v16, vcc_lo
	v_add_co_u32 v9, vcc_lo, s10, v19
	v_add_co_ci_u32_e32 v10, vcc_lo, s11, v20, vcc_lo
	s_clause 0x1
	global_load_b64 v[7:8], v[7:8], off
	global_load_b64 v[9:10], v[9:10], off
	s_waitcnt vmcnt(0)
	v_mul_f64 v[9:10], v[49:50], v[9:10]
	s_delay_alu instid0(VALU_DEP_1) | instskip(NEXT) | instid1(VALU_DEP_1)
	v_fma_f64 v[7:8], v[45:46], v[7:8], -v[9:10]
	v_mul_f64 v[7:8], v[7:8], s[34:35]
	s_delay_alu instid0(VALU_DEP_1)
	v_fma_f64 v[5:6], v[5:6], s[36:37], -v[7:8]
	v_add_co_u32 v7, vcc_lo, s10, v23
	v_add_co_ci_u32_e32 v8, vcc_lo, s11, v24, vcc_lo
	v_add_co_u32 v9, vcc_lo, s10, v27
	v_add_co_ci_u32_e32 v10, vcc_lo, s11, v28, vcc_lo
	s_clause 0x1
	global_load_b64 v[7:8], v[7:8], off
	global_load_b64 v[9:10], v[9:10], off
	s_waitcnt vmcnt(0)
	v_mul_f64 v[9:10], v[53:54], v[9:10]
	s_delay_alu instid0(VALU_DEP_1) | instskip(NEXT) | instid1(VALU_DEP_1)
	v_fma_f64 v[7:8], v[47:48], v[7:8], -v[9:10]
	v_fma_f64 v[5:6], v[7:8], s[30:31], v[5:6]
	v_add_co_u32 v7, vcc_lo, s10, v31
	v_add_co_ci_u32_e32 v8, vcc_lo, s11, v32, vcc_lo
	v_add_co_u32 v9, vcc_lo, s10, v35
	v_add_co_ci_u32_e32 v10, vcc_lo, s11, v36, vcc_lo
	s_clause 0x1
	global_load_b64 v[7:8], v[7:8], off
	global_load_b64 v[9:10], v[9:10], off
	s_waitcnt vmcnt(0)
	v_mul_f64 v[9:10], v[57:58], v[9:10]
	s_delay_alu instid0(VALU_DEP_1) | instskip(NEXT) | instid1(VALU_DEP_1)
	v_fma_f64 v[7:8], v[51:52], v[7:8], -v[9:10]
	v_fma_f64 v[5:6], v[7:8], s[8:9], v[5:6]
	v_add_co_u32 v7, vcc_lo, s18, v0
	v_add_co_ci_u32_e32 v8, vcc_lo, s19, v1, vcc_lo
	global_load_b64 v[9:10], v[7:8], off
	s_waitcnt vmcnt(0)
	v_fma_f64 v[5:6], -v[5:6], s[0:1], v[9:10]
	v_add_nc_u32_e32 v10, s26, v4
	s_lshl_b32 s0, s26, 1
	global_store_b64 v[7:8], v[5:6], off
	v_add_nc_u32_e32 v6, v10, v3
	v_subrev_nc_u32_e32 v10, s0, v10
	s_lshl_b32 s0, s26, 2
	s_delay_alu instid0(VALU_DEP_2) | instskip(NEXT) | instid1(VALU_DEP_2)
	v_mad_u64_u32 v[4:5], null, v6, s27, v[2:3]
	v_add_nc_u32_e32 v13, v10, v3
	s_delay_alu instid0(VALU_DEP_1) | instskip(NEXT) | instid1(VALU_DEP_3)
	v_mad_u64_u32 v[11:12], null, v13, s27, v[2:3]
	v_ashrrev_i32_e32 v5, 31, v4
	s_delay_alu instid0(VALU_DEP_1) | instskip(NEXT) | instid1(VALU_DEP_3)
	v_lshlrev_b64 v[4:5], 3, v[4:5]
	v_ashrrev_i32_e32 v12, 31, v11
	s_delay_alu instid0(VALU_DEP_2) | instskip(NEXT) | instid1(VALU_DEP_2)
	v_add_co_u32 v6, vcc_lo, s28, v4
	v_lshlrev_b64 v[11:12], 3, v[11:12]
	s_delay_alu instid0(VALU_DEP_4) | instskip(SKIP_2) | instid1(VALU_DEP_4)
	v_add_co_ci_u32_e32 v7, vcc_lo, s29, v5, vcc_lo
	v_add_co_u32 v8, vcc_lo, s22, v4
	v_add_co_ci_u32_e32 v9, vcc_lo, s23, v5, vcc_lo
	v_add_co_u32 v13, vcc_lo, s28, v11
	;; [unrolled: 2-line block ×5, first 2 shown]
	v_add_co_ci_u32_e32 v12, vcc_lo, s25, v12, vcc_lo
	global_load_b64 v[13:14], v[13:14], off
	global_load_b64 v[15:16], v[15:16], off
	;; [unrolled: 1-line block ×6, first 2 shown]
	s_waitcnt vmcnt(4)
	v_mul_f64 v[13:14], v[13:14], v[15:16]
	s_waitcnt vmcnt(2)
	v_mul_f64 v[11:12], v[15:16], v[11:12]
	s_waitcnt vmcnt(1)
	s_delay_alu instid0(VALU_DEP_2) | instskip(SKIP_1) | instid1(VALU_DEP_2)
	v_fma_f64 v[6:7], v[6:7], v[8:9], -v[13:14]
	s_waitcnt vmcnt(0)
	v_fma_f64 v[4:5], v[8:9], v[4:5], -v[11:12]
	s_delay_alu instid0(VALU_DEP_1) | instskip(SKIP_1) | instid1(VALU_DEP_1)
	v_add_f64 v[4:5], v[6:7], v[4:5]
	v_mad_u64_u32 v[6:7], null, s26, 3, v[10:11]
	v_add_nc_u32_e32 v9, v6, v3
	v_subrev_nc_u32_e32 v6, s0, v6
	s_lshl_b32 s0, s26, 3
	s_delay_alu instid0(VALU_DEP_2) | instskip(NEXT) | instid1(VALU_DEP_2)
	v_mad_u64_u32 v[7:8], null, v9, s27, v[2:3]
	v_add_nc_u32_e32 v15, v6, v3
	s_delay_alu instid0(VALU_DEP_1) | instskip(NEXT) | instid1(VALU_DEP_3)
	v_mad_u64_u32 v[13:14], null, v15, s27, v[2:3]
	v_ashrrev_i32_e32 v8, 31, v7
	s_delay_alu instid0(VALU_DEP_1) | instskip(NEXT) | instid1(VALU_DEP_3)
	v_lshlrev_b64 v[7:8], 3, v[7:8]
	v_ashrrev_i32_e32 v14, 31, v13
	s_delay_alu instid0(VALU_DEP_2) | instskip(NEXT) | instid1(VALU_DEP_2)
	v_add_co_u32 v9, vcc_lo, s28, v7
	v_lshlrev_b64 v[13:14], 3, v[13:14]
	s_delay_alu instid0(VALU_DEP_4) | instskip(SKIP_2) | instid1(VALU_DEP_4)
	v_add_co_ci_u32_e32 v10, vcc_lo, s29, v8, vcc_lo
	v_add_co_u32 v11, vcc_lo, s22, v7
	v_add_co_ci_u32_e32 v12, vcc_lo, s23, v8, vcc_lo
	v_add_co_u32 v15, vcc_lo, s28, v13
	;; [unrolled: 2-line block ×5, first 2 shown]
	v_add_co_ci_u32_e32 v14, vcc_lo, s25, v14, vcc_lo
	global_load_b64 v[15:16], v[15:16], off
	global_load_b64 v[17:18], v[17:18], off
	;; [unrolled: 1-line block ×6, first 2 shown]
	s_waitcnt vmcnt(4)
	v_mul_f64 v[15:16], v[15:16], v[17:18]
	s_waitcnt vmcnt(2)
	v_mul_f64 v[13:14], v[17:18], v[13:14]
	s_waitcnt vmcnt(1)
	s_delay_alu instid0(VALU_DEP_2) | instskip(SKIP_1) | instid1(VALU_DEP_2)
	v_fma_f64 v[9:10], v[9:10], v[11:12], -v[15:16]
	s_waitcnt vmcnt(0)
	v_fma_f64 v[7:8], v[11:12], v[7:8], -v[13:14]
	s_delay_alu instid0(VALU_DEP_1) | instskip(NEXT) | instid1(VALU_DEP_1)
	v_add_f64 v[7:8], v[9:10], v[7:8]
	v_mul_f64 v[7:8], v[7:8], s[34:35]
	s_delay_alu instid0(VALU_DEP_1) | instskip(SKIP_1) | instid1(VALU_DEP_1)
	v_fma_f64 v[4:5], v[4:5], s[36:37], -v[7:8]
	v_mad_u64_u32 v[7:8], null, s26, 5, v[6:7]
	v_add_nc_u32_e32 v6, v7, v3
	s_delay_alu instid0(VALU_DEP_1) | instskip(NEXT) | instid1(VALU_DEP_1)
	v_mad_u64_u32 v[8:9], null, v6, s27, v[2:3]
	v_ashrrev_i32_e32 v9, 31, v8
	s_delay_alu instid0(VALU_DEP_1) | instskip(NEXT) | instid1(VALU_DEP_1)
	v_lshlrev_b64 v[8:9], 3, v[8:9]
	v_mad_u64_u32 v[14:15], null, s26, -6, v[7:8]
	v_add_co_u32 v10, vcc_lo, s28, v8
	s_delay_alu instid0(VALU_DEP_3) | instskip(SKIP_1) | instid1(VALU_DEP_4)
	v_add_co_ci_u32_e32 v11, vcc_lo, s29, v9, vcc_lo
	v_add_co_u32 v12, vcc_lo, s22, v8
	v_add_nc_u32_e32 v15, v14, v3
	v_add_co_ci_u32_e32 v13, vcc_lo, s23, v9, vcc_lo
	global_load_b64 v[10:11], v[10:11], off
	v_mad_u64_u32 v[6:7], null, v15, s27, v[2:3]
	global_load_b64 v[12:13], v[12:13], off
	v_ashrrev_i32_e32 v7, 31, v6
	s_delay_alu instid0(VALU_DEP_1) | instskip(NEXT) | instid1(VALU_DEP_1)
	v_lshlrev_b64 v[6:7], 3, v[6:7]
	v_add_co_u32 v15, vcc_lo, s28, v6
	s_delay_alu instid0(VALU_DEP_2)
	v_add_co_ci_u32_e32 v16, vcc_lo, s29, v7, vcc_lo
	v_add_co_u32 v17, vcc_lo, s22, v6
	v_add_co_ci_u32_e32 v18, vcc_lo, s23, v7, vcc_lo
	v_add_co_u32 v8, vcc_lo, s24, v8
	;; [unrolled: 2-line block ×3, first 2 shown]
	v_add_co_ci_u32_e32 v7, vcc_lo, s25, v7, vcc_lo
	global_load_b64 v[15:16], v[15:16], off
	global_load_b64 v[17:18], v[17:18], off
	s_clause 0x1
	global_load_b64 v[8:9], v[8:9], off
	global_load_b64 v[6:7], v[6:7], off
	s_waitcnt vmcnt(2)
	v_mul_f64 v[15:16], v[15:16], v[17:18]
	s_waitcnt vmcnt(0)
	v_mul_f64 v[6:7], v[17:18], v[6:7]
	s_delay_alu instid0(VALU_DEP_2) | instskip(NEXT) | instid1(VALU_DEP_2)
	v_fma_f64 v[10:11], v[10:11], v[12:13], -v[15:16]
	v_fma_f64 v[6:7], v[12:13], v[8:9], -v[6:7]
	s_delay_alu instid0(VALU_DEP_1) | instskip(NEXT) | instid1(VALU_DEP_1)
	v_add_f64 v[6:7], v[10:11], v[6:7]
	v_fma_f64 v[4:5], v[6:7], s[30:31], v[4:5]
	v_mad_u64_u32 v[6:7], null, s26, 7, v[14:15]
	s_delay_alu instid0(VALU_DEP_1) | instskip(SKIP_1) | instid1(VALU_DEP_2)
	v_add_nc_u32_e32 v9, v6, v3
	v_subrev_nc_u32_e32 v6, s0, v6
	v_mad_u64_u32 v[7:8], null, v9, s27, v[2:3]
	s_delay_alu instid0(VALU_DEP_2) | instskip(NEXT) | instid1(VALU_DEP_1)
	v_add_nc_u32_e32 v3, v6, v3
	v_mad_u64_u32 v[13:14], null, v3, s27, v[2:3]
	s_delay_alu instid0(VALU_DEP_3) | instskip(NEXT) | instid1(VALU_DEP_1)
	v_ashrrev_i32_e32 v8, 31, v7
	v_lshlrev_b64 v[7:8], 3, v[7:8]
	s_delay_alu instid0(VALU_DEP_3) | instskip(NEXT) | instid1(VALU_DEP_2)
	v_ashrrev_i32_e32 v14, 31, v13
	v_add_co_u32 v9, vcc_lo, s28, v7
	s_delay_alu instid0(VALU_DEP_2) | instskip(NEXT) | instid1(VALU_DEP_4)
	v_lshlrev_b64 v[2:3], 3, v[13:14]
	v_add_co_ci_u32_e32 v10, vcc_lo, s29, v8, vcc_lo
	v_add_co_u32 v11, vcc_lo, s22, v7
	v_add_co_ci_u32_e32 v12, vcc_lo, s23, v8, vcc_lo
	s_delay_alu instid0(VALU_DEP_4)
	v_add_co_u32 v13, vcc_lo, s28, v2
	v_add_co_ci_u32_e32 v14, vcc_lo, s29, v3, vcc_lo
	v_add_co_u32 v15, vcc_lo, s22, v2
	v_add_co_ci_u32_e32 v16, vcc_lo, s23, v3, vcc_lo
	;; [unrolled: 2-line block ×4, first 2 shown]
	global_load_b64 v[13:14], v[13:14], off
	global_load_b64 v[15:16], v[15:16], off
	s_clause 0x1
	global_load_b64 v[6:7], v[6:7], off
	global_load_b64 v[2:3], v[2:3], off
	;; [unrolled: 1-line block ×4, first 2 shown]
	v_add_co_u32 v0, vcc_lo, s4, v0
	v_add_co_ci_u32_e32 v1, vcc_lo, s5, v1, vcc_lo
	s_waitcnt vmcnt(4)
	v_mul_f64 v[13:14], v[13:14], v[15:16]
	s_waitcnt vmcnt(2)
	v_mul_f64 v[2:3], v[15:16], v[2:3]
	s_waitcnt vmcnt(0)
	s_delay_alu instid0(VALU_DEP_2) | instskip(NEXT) | instid1(VALU_DEP_2)
	v_fma_f64 v[9:10], v[9:10], v[11:12], -v[13:14]
	v_fma_f64 v[2:3], v[11:12], v[6:7], -v[2:3]
	s_delay_alu instid0(VALU_DEP_1) | instskip(NEXT) | instid1(VALU_DEP_1)
	v_add_f64 v[2:3], v[9:10], v[2:3]
	v_fma_f64 v[2:3], v[2:3], s[8:9], v[4:5]
	global_load_b64 v[4:5], v[0:1], off
	s_waitcnt vmcnt(0)
	v_fma_f64 v[2:3], -v[2:3], s[2:3], v[4:5]
	global_store_b64 v[0:1], v[2:3], off
.LBB1_2:
	s_nop 0
	s_sendmsg sendmsg(MSG_DEALLOC_VGPRS)
	s_endpgm
	.section	.rodata,"a",@progbits
	.p2align	6, 0x0
	.amdhsa_kernel _Z9hypterm_2PdS_S_S_S_PKdS1_S1_S1_S1_S1_S1_S1_dddiii
		.amdhsa_group_segment_fixed_size 0
		.amdhsa_private_segment_fixed_size 0
		.amdhsa_kernarg_size 400
		.amdhsa_user_sgpr_count 13
		.amdhsa_user_sgpr_dispatch_ptr 0
		.amdhsa_user_sgpr_queue_ptr 0
		.amdhsa_user_sgpr_kernarg_segment_ptr 1
		.amdhsa_user_sgpr_dispatch_id 0
		.amdhsa_user_sgpr_private_segment_size 0
		.amdhsa_wavefront_size32 1
		.amdhsa_uses_dynamic_stack 0
		.amdhsa_enable_private_segment 0
		.amdhsa_system_sgpr_workgroup_id_x 1
		.amdhsa_system_sgpr_workgroup_id_y 1
		.amdhsa_system_sgpr_workgroup_id_z 1
		.amdhsa_system_sgpr_workgroup_info 0
		.amdhsa_system_vgpr_workitem_id 2
		.amdhsa_next_free_vgpr 59
		.amdhsa_next_free_sgpr 38
		.amdhsa_reserve_vcc 1
		.amdhsa_float_round_mode_32 0
		.amdhsa_float_round_mode_16_64 0
		.amdhsa_float_denorm_mode_32 3
		.amdhsa_float_denorm_mode_16_64 3
		.amdhsa_dx10_clamp 1
		.amdhsa_ieee_mode 1
		.amdhsa_fp16_overflow 0
		.amdhsa_workgroup_processor_mode 1
		.amdhsa_memory_ordered 1
		.amdhsa_forward_progress 0
		.amdhsa_shared_vgpr_count 0
		.amdhsa_exception_fp_ieee_invalid_op 0
		.amdhsa_exception_fp_denorm_src 0
		.amdhsa_exception_fp_ieee_div_zero 0
		.amdhsa_exception_fp_ieee_overflow 0
		.amdhsa_exception_fp_ieee_underflow 0
		.amdhsa_exception_fp_ieee_inexact 0
		.amdhsa_exception_int_div_zero 0
	.end_amdhsa_kernel
	.text
.Lfunc_end1:
	.size	_Z9hypterm_2PdS_S_S_S_PKdS1_S1_S1_S1_S1_S1_S1_dddiii, .Lfunc_end1-_Z9hypterm_2PdS_S_S_S_PKdS1_S1_S1_S1_S1_S1_S1_dddiii
                                        ; -- End function
	.section	.AMDGPU.csdata,"",@progbits
; Kernel info:
; codeLenInByte = 3268
; NumSgprs: 40
; NumVgprs: 59
; ScratchSize: 0
; MemoryBound: 0
; FloatMode: 240
; IeeeMode: 1
; LDSByteSize: 0 bytes/workgroup (compile time only)
; SGPRBlocks: 4
; VGPRBlocks: 7
; NumSGPRsForWavesPerEU: 40
; NumVGPRsForWavesPerEU: 59
; Occupancy: 16
; WaveLimiterHint : 0
; COMPUTE_PGM_RSRC2:SCRATCH_EN: 0
; COMPUTE_PGM_RSRC2:USER_SGPR: 13
; COMPUTE_PGM_RSRC2:TRAP_HANDLER: 0
; COMPUTE_PGM_RSRC2:TGID_X_EN: 1
; COMPUTE_PGM_RSRC2:TGID_Y_EN: 1
; COMPUTE_PGM_RSRC2:TGID_Z_EN: 1
; COMPUTE_PGM_RSRC2:TIDIG_COMP_CNT: 2
	.text
	.protected	_Z9hypterm_3PdS_S_S_S_PKdS1_S1_S1_S1_S1_S1_S1_dddiii ; -- Begin function _Z9hypterm_3PdS_S_S_S_PKdS1_S1_S1_S1_S1_S1_S1_dddiii
	.globl	_Z9hypterm_3PdS_S_S_S_PKdS1_S1_S1_S1_S1_S1_S1_dddiii
	.p2align	8
	.type	_Z9hypterm_3PdS_S_S_S_PKdS1_S1_S1_S1_S1_S1_S1_dddiii,@function
_Z9hypterm_3PdS_S_S_S_PKdS1_S1_S1_S1_S1_S1_S1_dddiii: ; @_Z9hypterm_3PdS_S_S_S_PKdS1_S1_S1_S1_S1_S1_S1_dddiii
; %bb.0:
	s_clause 0x1
	s_load_b64 s[2:3], s[0:1], 0x9c
	s_load_b64 s[26:27], s[0:1], 0x84
	v_and_b32_e32 v1, 0x3ff, v0
	v_bfe_u32 v2, v0, 10, 10
	v_bfe_u32 v3, v0, 20, 10
	s_waitcnt lgkmcnt(0)
	s_and_b32 s3, s3, 0xffff
	s_and_b32 s4, s2, 0xffff
	s_lshr_b32 s2, s2, 16
	s_mul_i32 s13, s13, s4
	s_mul_i32 s14, s14, s2
	s_mul_i32 s15, s15, s3
	s_max_i32 s2, s13, 0
	s_max_i32 s3, s14, 0
	;; [unrolled: 1-line block ×3, first 2 shown]
	v_add_nc_u32_e32 v0, s2, v1
	v_add_nc_u32_e32 v1, s3, v2
	;; [unrolled: 1-line block ×3, first 2 shown]
	s_add_i32 s2, s27, -5
	s_delay_alu instid0(VALU_DEP_1) | instskip(SKIP_1) | instid1(VALU_DEP_2)
	v_min3_u32 v3, v0, v1, v2
	v_max3_i32 v4, v0, v1, v2
	v_cmp_lt_u32_e32 vcc_lo, 3, v3
	s_delay_alu instid0(VALU_DEP_2) | instskip(NEXT) | instid1(VALU_DEP_1)
	v_cmp_ge_i32_e64 s2, s2, v4
	s_and_b32 s2, s2, vcc_lo
	s_delay_alu instid0(SALU_CYCLE_1)
	s_and_saveexec_b32 s3, s2
	s_cbranch_execz .LBB2_2
; %bb.1:
	v_mul_lo_u32 v41, v2, s26
	s_clause 0x5
	s_load_b64 s[24:25], s[0:1], 0x60
	s_load_b128 s[20:23], s[0:1], 0x50
	s_load_b64 s[28:29], s[0:1], 0x40
	s_load_b256 s[12:19], s[0:1], 0x0
	s_load_b256 s[4:11], s[0:1], 0x20
	s_load_b128 s[0:3], s[0:1], 0x70
	s_lshl_b32 s30, s26, 1
	s_brev_b32 s34, 5
	s_mov_b32 s35, 0x3fc99999
	s_mov_b32 s37, 0x3fe99999
	;; [unrolled: 1-line block ×3, first 2 shown]
	v_add_nc_u32_e32 v8, s26, v41
	s_delay_alu instid0(VALU_DEP_1) | instskip(NEXT) | instid1(VALU_DEP_1)
	v_add_nc_u32_e32 v4, v8, v1
	v_mad_u64_u32 v[2:3], null, v4, s27, v[0:1]
	s_delay_alu instid0(VALU_DEP_1) | instskip(NEXT) | instid1(VALU_DEP_1)
	v_ashrrev_i32_e32 v3, 31, v2
	v_lshlrev_b64 v[4:5], 3, v[2:3]
	s_waitcnt lgkmcnt(0)
	s_delay_alu instid0(VALU_DEP_1) | instskip(NEXT) | instid1(VALU_DEP_2)
	v_add_co_u32 v2, vcc_lo, s10, v4
	v_add_co_ci_u32_e32 v3, vcc_lo, s11, v5, vcc_lo
	global_load_b64 v[6:7], v[2:3], off
	v_subrev_nc_u32_e32 v2, s30, v8
	s_lshl_b32 s30, s26, 2
	s_delay_alu instid0(VALU_DEP_1) | instskip(NEXT) | instid1(VALU_DEP_1)
	v_add_nc_u32_e32 v3, v2, v1
	v_mad_u64_u32 v[14:15], null, s26, 3, v[2:3]
	v_mad_u64_u32 v[8:9], null, v3, s27, v[0:1]
	s_delay_alu instid0(VALU_DEP_2) | instskip(NEXT) | instid1(VALU_DEP_2)
	v_add_nc_u32_e32 v15, v14, v1
	v_ashrrev_i32_e32 v9, 31, v8
	s_delay_alu instid0(VALU_DEP_2) | instskip(NEXT) | instid1(VALU_DEP_2)
	v_mad_u64_u32 v[2:3], null, v15, s27, v[0:1]
	v_lshlrev_b64 v[8:9], 3, v[8:9]
	s_delay_alu instid0(VALU_DEP_1) | instskip(NEXT) | instid1(VALU_DEP_3)
	v_add_co_u32 v10, vcc_lo, s10, v8
	v_ashrrev_i32_e32 v3, 31, v2
	s_delay_alu instid0(VALU_DEP_3) | instskip(NEXT) | instid1(VALU_DEP_2)
	v_add_co_ci_u32_e32 v11, vcc_lo, s11, v9, vcc_lo
	v_lshlrev_b64 v[15:16], 3, v[2:3]
	global_load_b64 v[10:11], v[10:11], off
	v_add_co_u32 v2, vcc_lo, s10, v15
	v_add_co_ci_u32_e32 v3, vcc_lo, s11, v16, vcc_lo
	global_load_b64 v[17:18], v[2:3], off
	v_subrev_nc_u32_e32 v2, s30, v14
	s_brev_b32 s30, 6
	s_mov_b32 s31, 0x3fa374bc
	s_delay_alu instid0(VALU_DEP_1) | instskip(NEXT) | instid1(VALU_DEP_1)
	v_add_nc_u32_e32 v3, v2, v1
	v_mad_u64_u32 v[19:20], null, v3, s27, v[0:1]
	s_delay_alu instid0(VALU_DEP_1) | instskip(NEXT) | instid1(VALU_DEP_1)
	v_ashrrev_i32_e32 v20, 31, v19
	v_lshlrev_b64 v[19:20], 3, v[19:20]
	s_delay_alu instid0(VALU_DEP_1) | instskip(NEXT) | instid1(VALU_DEP_2)
	v_add_co_u32 v21, vcc_lo, s10, v19
	v_add_co_ci_u32_e32 v22, vcc_lo, s11, v20, vcc_lo
	global_load_b64 v[21:22], v[21:22], off
	s_waitcnt vmcnt(2)
	v_add_f64 v[12:13], v[6:7], -v[10:11]
	s_waitcnt vmcnt(0)
	v_add_f64 v[23:24], v[17:18], -v[21:22]
	s_delay_alu instid0(VALU_DEP_1) | instskip(NEXT) | instid1(VALU_DEP_1)
	v_mul_f64 v[23:24], v[23:24], s[34:35]
	v_fma_f64 v[12:13], v[12:13], s[36:37], -v[23:24]
	v_mad_u64_u32 v[23:24], null, s26, 5, v[2:3]
	s_delay_alu instid0(VALU_DEP_1) | instskip(NEXT) | instid1(VALU_DEP_1)
	v_add_nc_u32_e32 v14, v23, v1
	v_mad_u64_u32 v[2:3], null, v14, s27, v[0:1]
	s_delay_alu instid0(VALU_DEP_1) | instskip(NEXT) | instid1(VALU_DEP_1)
	v_ashrrev_i32_e32 v3, 31, v2
	v_lshlrev_b64 v[24:25], 3, v[2:3]
	s_delay_alu instid0(VALU_DEP_1) | instskip(NEXT) | instid1(VALU_DEP_2)
	v_add_co_u32 v2, vcc_lo, s10, v24
	v_add_co_ci_u32_e32 v3, vcc_lo, s11, v25, vcc_lo
	global_load_b64 v[26:27], v[2:3], off
	v_mad_u64_u32 v[2:3], null, s26, -6, v[23:24]
	s_delay_alu instid0(VALU_DEP_1) | instskip(NEXT) | instid1(VALU_DEP_1)
	v_add_nc_u32_e32 v3, v2, v1
	v_mad_u64_u32 v[28:29], null, v3, s27, v[0:1]
	s_delay_alu instid0(VALU_DEP_1) | instskip(NEXT) | instid1(VALU_DEP_1)
	v_ashrrev_i32_e32 v29, 31, v28
	v_lshlrev_b64 v[28:29], 3, v[28:29]
	s_delay_alu instid0(VALU_DEP_1) | instskip(NEXT) | instid1(VALU_DEP_2)
	v_add_co_u32 v30, vcc_lo, s10, v28
	v_add_co_ci_u32_e32 v31, vcc_lo, s11, v29, vcc_lo
	global_load_b64 v[30:31], v[30:31], off
	s_waitcnt vmcnt(0)
	v_add_f64 v[32:33], v[26:27], -v[30:31]
	s_delay_alu instid0(VALU_DEP_1) | instskip(SKIP_2) | instid1(VALU_DEP_1)
	v_fma_f64 v[12:13], v[32:33], s[30:31], v[12:13]
	v_mad_u64_u32 v[32:33], null, s26, 7, v[2:3]
	s_lshl_b32 s26, s26, 3
	v_add_nc_u32_e32 v14, v32, v1
	s_delay_alu instid0(VALU_DEP_1) | instskip(NEXT) | instid1(VALU_DEP_1)
	v_mad_u64_u32 v[2:3], null, v14, s27, v[0:1]
	v_ashrrev_i32_e32 v3, 31, v2
	s_delay_alu instid0(VALU_DEP_1) | instskip(NEXT) | instid1(VALU_DEP_1)
	v_lshlrev_b64 v[33:34], 3, v[2:3]
	v_add_co_u32 v2, vcc_lo, s10, v33
	s_delay_alu instid0(VALU_DEP_2) | instskip(SKIP_2) | instid1(VALU_DEP_1)
	v_add_co_ci_u32_e32 v3, vcc_lo, s11, v34, vcc_lo
	global_load_b64 v[35:36], v[2:3], off
	v_subrev_nc_u32_e32 v2, s26, v32
	v_add_nc_u32_e32 v14, v2, v1
	s_delay_alu instid0(VALU_DEP_1) | instskip(NEXT) | instid1(VALU_DEP_1)
	v_mad_u64_u32 v[2:3], null, v14, s27, v[0:1]
	v_ashrrev_i32_e32 v3, 31, v2
	s_delay_alu instid0(VALU_DEP_1) | instskip(NEXT) | instid1(VALU_DEP_1)
	v_lshlrev_b64 v[37:38], 3, v[2:3]
	v_add_co_u32 v2, vcc_lo, s10, v37
	s_delay_alu instid0(VALU_DEP_2)
	v_add_co_ci_u32_e32 v3, vcc_lo, s11, v38, vcc_lo
	s_mov_b32 s10, 2.0
	s_mov_b32 s11, 0xbf6cac08
	global_load_b64 v[39:40], v[2:3], off
	s_waitcnt vmcnt(0)
	v_add_f64 v[2:3], v[35:36], -v[39:40]
	s_delay_alu instid0(VALU_DEP_1) | instskip(SKIP_1) | instid1(VALU_DEP_1)
	v_fma_f64 v[12:13], v[2:3], s[10:11], v[12:13]
	v_add_nc_u32_e32 v3, v41, v1
	v_mad_u64_u32 v[41:42], null, v3, s27, v[0:1]
	s_delay_alu instid0(VALU_DEP_1) | instskip(NEXT) | instid1(VALU_DEP_1)
	v_ashrrev_i32_e32 v42, 31, v41
	v_lshlrev_b64 v[1:2], 3, v[41:42]
	s_delay_alu instid0(VALU_DEP_1) | instskip(NEXT) | instid1(VALU_DEP_2)
	v_add_co_u32 v42, vcc_lo, s12, v1
	v_add_co_ci_u32_e32 v43, vcc_lo, s13, v2, vcc_lo
	global_load_b64 v[44:45], v[42:43], off
	s_waitcnt vmcnt(0)
	v_fma_f64 v[12:13], -v[12:13], s[2:3], v[44:45]
	global_store_b64 v[42:43], v[12:13], off
	v_add_co_u32 v12, vcc_lo, s6, v4
	v_add_co_ci_u32_e32 v13, vcc_lo, s7, v5, vcc_lo
	v_add_co_u32 v42, vcc_lo, s22, v4
	v_add_co_ci_u32_e32 v43, vcc_lo, s23, v5, vcc_lo
	;; [unrolled: 2-line block ×4, first 2 shown]
	s_clause 0x1
	global_load_b64 v[44:45], v[44:45], off
	global_load_b64 v[12:13], v[12:13], off
	s_clause 0x1
	global_load_b64 v[42:43], v[42:43], off
	global_load_b64 v[46:47], v[46:47], off
	s_waitcnt vmcnt(0)
	v_mul_f64 v[44:45], v[44:45], v[46:47]
	v_mul_f64 v[10:11], v[10:11], v[46:47]
	s_delay_alu instid0(VALU_DEP_2)
	v_fma_f64 v[12:13], v[12:13], v[42:43], -v[44:45]
	v_add_co_u32 v44, vcc_lo, s6, v15
	v_add_co_ci_u32_e32 v45, vcc_lo, s7, v16, vcc_lo
	v_add_co_u32 v48, vcc_lo, s22, v15
	v_add_co_ci_u32_e32 v49, vcc_lo, s23, v16, vcc_lo
	;; [unrolled: 2-line block ×4, first 2 shown]
	s_clause 0x1
	global_load_b64 v[50:51], v[50:51], off
	global_load_b64 v[44:45], v[44:45], off
	s_clause 0x1
	global_load_b64 v[48:49], v[48:49], off
	global_load_b64 v[52:53], v[52:53], off
	v_fma_f64 v[6:7], v[6:7], v[42:43], -v[10:11]
	s_waitcnt vmcnt(0)
	v_mul_f64 v[50:51], v[50:51], v[52:53]
	s_delay_alu instid0(VALU_DEP_1) | instskip(NEXT) | instid1(VALU_DEP_1)
	v_fma_f64 v[44:45], v[44:45], v[48:49], -v[50:51]
	v_mul_f64 v[44:45], v[44:45], s[34:35]
	s_delay_alu instid0(VALU_DEP_1)
	v_fma_f64 v[12:13], v[12:13], s[36:37], -v[44:45]
	v_add_co_u32 v44, vcc_lo, s6, v24
	v_add_co_ci_u32_e32 v45, vcc_lo, s7, v25, vcc_lo
	v_add_co_u32 v50, vcc_lo, s22, v24
	v_add_co_ci_u32_e32 v51, vcc_lo, s23, v25, vcc_lo
	;; [unrolled: 2-line block ×4, first 2 shown]
	s_clause 0x1
	global_load_b64 v[54:55], v[54:55], off
	global_load_b64 v[44:45], v[44:45], off
	s_clause 0x1
	global_load_b64 v[50:51], v[50:51], off
	global_load_b64 v[56:57], v[56:57], off
	s_waitcnt vmcnt(0)
	v_mul_f64 v[54:55], v[54:55], v[56:57]
	s_delay_alu instid0(VALU_DEP_1) | instskip(NEXT) | instid1(VALU_DEP_1)
	v_fma_f64 v[44:45], v[44:45], v[50:51], -v[54:55]
	v_fma_f64 v[12:13], v[44:45], s[30:31], v[12:13]
	v_add_co_u32 v44, vcc_lo, s6, v33
	v_add_co_ci_u32_e32 v45, vcc_lo, s7, v34, vcc_lo
	v_add_co_u32 v54, vcc_lo, s22, v33
	v_add_co_ci_u32_e32 v55, vcc_lo, s23, v34, vcc_lo
	;; [unrolled: 2-line block ×4, first 2 shown]
	s_clause 0x1
	global_load_b64 v[58:59], v[58:59], off
	global_load_b64 v[44:45], v[44:45], off
	s_clause 0x1
	global_load_b64 v[54:55], v[54:55], off
	global_load_b64 v[60:61], v[60:61], off
	s_waitcnt vmcnt(0)
	v_mul_f64 v[58:59], v[58:59], v[60:61]
	s_delay_alu instid0(VALU_DEP_1) | instskip(NEXT) | instid1(VALU_DEP_1)
	v_fma_f64 v[44:45], v[44:45], v[54:55], -v[58:59]
	v_fma_f64 v[12:13], v[44:45], s[10:11], v[12:13]
	v_add_co_u32 v44, vcc_lo, s14, v1
	v_add_co_ci_u32_e32 v45, vcc_lo, s15, v2, vcc_lo
	global_load_b64 v[58:59], v[44:45], off
	s_waitcnt vmcnt(0)
	v_fma_f64 v[12:13], -v[12:13], s[2:3], v[58:59]
	global_store_b64 v[44:45], v[12:13], off
	v_add_co_u32 v12, vcc_lo, s8, v4
	v_add_co_ci_u32_e32 v13, vcc_lo, s9, v5, vcc_lo
	v_add_co_u32 v44, vcc_lo, s8, v8
	v_add_co_ci_u32_e32 v45, vcc_lo, s9, v9, vcc_lo
	s_clause 0x1
	global_load_b64 v[12:13], v[12:13], off
	global_load_b64 v[44:45], v[44:45], off
	s_waitcnt vmcnt(0)
	v_mul_f64 v[44:45], v[46:47], v[44:45]
	s_delay_alu instid0(VALU_DEP_1)
	v_fma_f64 v[12:13], v[42:43], v[12:13], -v[44:45]
	v_add_co_u32 v44, vcc_lo, s8, v15
	v_add_co_ci_u32_e32 v45, vcc_lo, s9, v16, vcc_lo
	v_add_co_u32 v58, vcc_lo, s8, v19
	v_add_co_ci_u32_e32 v59, vcc_lo, s9, v20, vcc_lo
	s_clause 0x1
	global_load_b64 v[44:45], v[44:45], off
	global_load_b64 v[58:59], v[58:59], off
	s_waitcnt vmcnt(0)
	v_mul_f64 v[58:59], v[52:53], v[58:59]
	s_delay_alu instid0(VALU_DEP_1) | instskip(NEXT) | instid1(VALU_DEP_1)
	v_fma_f64 v[44:45], v[48:49], v[44:45], -v[58:59]
	v_mul_f64 v[44:45], v[44:45], s[34:35]
	s_delay_alu instid0(VALU_DEP_1)
	v_fma_f64 v[12:13], v[12:13], s[36:37], -v[44:45]
	v_add_co_u32 v44, vcc_lo, s8, v24
	v_add_co_ci_u32_e32 v45, vcc_lo, s9, v25, vcc_lo
	v_add_co_u32 v58, vcc_lo, s8, v28
	v_add_co_ci_u32_e32 v59, vcc_lo, s9, v29, vcc_lo
	s_clause 0x1
	global_load_b64 v[44:45], v[44:45], off
	global_load_b64 v[58:59], v[58:59], off
	s_waitcnt vmcnt(0)
	v_mul_f64 v[58:59], v[56:57], v[58:59]
	s_delay_alu instid0(VALU_DEP_1) | instskip(NEXT) | instid1(VALU_DEP_1)
	v_fma_f64 v[44:45], v[50:51], v[44:45], -v[58:59]
	v_fma_f64 v[12:13], v[44:45], s[30:31], v[12:13]
	v_add_co_u32 v44, vcc_lo, s8, v33
	v_add_co_ci_u32_e32 v45, vcc_lo, s9, v34, vcc_lo
	v_add_co_u32 v58, vcc_lo, s8, v37
	v_add_co_ci_u32_e32 v59, vcc_lo, s9, v38, vcc_lo
	s_clause 0x1
	global_load_b64 v[44:45], v[44:45], off
	global_load_b64 v[58:59], v[58:59], off
	s_waitcnt vmcnt(0)
	v_mul_f64 v[58:59], v[60:61], v[58:59]
	s_delay_alu instid0(VALU_DEP_1) | instskip(NEXT) | instid1(VALU_DEP_1)
	v_fma_f64 v[44:45], v[54:55], v[44:45], -v[58:59]
	v_fma_f64 v[12:13], v[44:45], s[10:11], v[12:13]
	v_add_co_u32 v44, vcc_lo, s16, v1
	v_add_co_ci_u32_e32 v45, vcc_lo, s17, v2, vcc_lo
	v_add_co_u32 v4, vcc_lo, s24, v4
	v_add_co_ci_u32_e32 v5, vcc_lo, s25, v5, vcc_lo
	;; [unrolled: 2-line block ×3, first 2 shown]
	global_load_b64 v[4:5], v[4:5], off
	global_load_b64 v[58:59], v[44:45], off
	;; [unrolled: 1-line block ×3, first 2 shown]
	s_waitcnt vmcnt(1)
	v_fma_f64 v[12:13], -v[12:13], s[2:3], v[58:59]
	s_waitcnt vmcnt(0)
	v_add_f64 v[4:5], v[4:5], -v[8:9]
	v_add_co_u32 v8, vcc_lo, s24, v15
	v_add_co_ci_u32_e32 v9, vcc_lo, s25, v16, vcc_lo
	v_add_co_u32 v10, vcc_lo, s24, v19
	v_add_co_ci_u32_e32 v11, vcc_lo, s25, v20, vcc_lo
	s_clause 0x1
	global_load_b64 v[8:9], v[8:9], off
	global_load_b64 v[10:11], v[10:11], off
	global_store_b64 v[44:45], v[12:13], off
	v_add_nc_u32_e32 v12, -1, v3
	v_add_f64 v[4:5], v[6:7], v[4:5]
	v_mul_f64 v[6:7], v[21:22], v[52:53]
	s_delay_alu instid0(VALU_DEP_1) | instskip(SKIP_2) | instid1(VALU_DEP_1)
	v_fma_f64 v[6:7], v[17:18], v[48:49], -v[6:7]
	s_waitcnt vmcnt(0)
	v_add_f64 v[8:9], v[8:9], -v[10:11]
	v_add_f64 v[6:7], v[6:7], v[8:9]
	v_add_co_u32 v8, vcc_lo, s24, v24
	v_add_co_ci_u32_e32 v9, vcc_lo, s25, v25, vcc_lo
	v_add_co_u32 v10, vcc_lo, s24, v28
	v_add_co_ci_u32_e32 v11, vcc_lo, s25, v29, vcc_lo
	s_clause 0x1
	global_load_b64 v[8:9], v[8:9], off
	global_load_b64 v[10:11], v[10:11], off
	v_mul_f64 v[6:7], v[6:7], s[34:35]
	s_delay_alu instid0(VALU_DEP_1) | instskip(SKIP_1) | instid1(VALU_DEP_1)
	v_fma_f64 v[4:5], v[4:5], s[36:37], -v[6:7]
	v_mul_f64 v[6:7], v[30:31], v[56:57]
	v_fma_f64 v[6:7], v[26:27], v[50:51], -v[6:7]
	s_waitcnt vmcnt(0)
	v_add_f64 v[8:9], v[8:9], -v[10:11]
	s_delay_alu instid0(VALU_DEP_1)
	v_add_f64 v[6:7], v[6:7], v[8:9]
	v_add_co_u32 v8, vcc_lo, s24, v33
	v_add_co_ci_u32_e32 v9, vcc_lo, s25, v34, vcc_lo
	v_add_co_u32 v10, vcc_lo, s24, v37
	v_add_co_ci_u32_e32 v11, vcc_lo, s25, v38, vcc_lo
	s_clause 0x1
	global_load_b64 v[8:9], v[8:9], off
	global_load_b64 v[10:11], v[10:11], off
	v_fma_f64 v[4:5], v[6:7], s[30:31], v[4:5]
	v_mul_f64 v[6:7], v[39:40], v[60:61]
	s_delay_alu instid0(VALU_DEP_1) | instskip(SKIP_3) | instid1(VALU_DEP_1)
	v_fma_f64 v[6:7], v[35:36], v[54:55], -v[6:7]
	s_waitcnt vmcnt(0)
	v_add_f64 v[8:9], v[8:9], -v[10:11]
	v_mad_u64_u32 v[10:11], null, v12, s27, v[0:1]
	v_ashrrev_i32_e32 v11, 31, v10
	s_delay_alu instid0(VALU_DEP_1) | instskip(NEXT) | instid1(VALU_DEP_4)
	v_lshlrev_b64 v[10:11], 3, v[10:11]
	v_add_f64 v[6:7], v[6:7], v[8:9]
	s_delay_alu instid0(VALU_DEP_1)
	v_fma_f64 v[4:5], v[6:7], s[10:11], v[4:5]
	v_add_co_u32 v6, vcc_lo, s18, v1
	v_add_co_ci_u32_e32 v7, vcc_lo, s19, v2, vcc_lo
	global_load_b64 v[8:9], v[6:7], off
	s_waitcnt vmcnt(0)
	v_fma_f64 v[4:5], -v[4:5], s[2:3], v[8:9]
	global_store_b64 v[6:7], v[4:5], off
	v_add_nc_u32_e32 v4, s27, v41
	s_delay_alu instid0(VALU_DEP_1) | instskip(NEXT) | instid1(VALU_DEP_1)
	v_ashrrev_i32_e32 v5, 31, v4
	v_lshlrev_b64 v[4:5], 3, v[4:5]
	s_delay_alu instid0(VALU_DEP_1) | instskip(NEXT) | instid1(VALU_DEP_2)
	v_add_co_u32 v6, vcc_lo, s28, v4
	v_add_co_ci_u32_e32 v7, vcc_lo, s29, v5, vcc_lo
	v_add_co_u32 v8, vcc_lo, s20, v4
	v_add_co_ci_u32_e32 v9, vcc_lo, s21, v5, vcc_lo
	;; [unrolled: 2-line block ×6, first 2 shown]
	global_load_b64 v[12:13], v[12:13], off
	global_load_b64 v[14:15], v[14:15], off
	;; [unrolled: 1-line block ×6, first 2 shown]
	s_waitcnt vmcnt(4)
	v_mul_f64 v[12:13], v[12:13], v[14:15]
	s_waitcnt vmcnt(2)
	v_mul_f64 v[10:11], v[14:15], v[10:11]
	v_add_nc_u32_e32 v14, -2, v3
	s_waitcnt vmcnt(1)
	s_delay_alu instid0(VALU_DEP_3) | instskip(NEXT) | instid1(VALU_DEP_2)
	v_fma_f64 v[6:7], v[6:7], v[8:9], -v[12:13]
	v_mad_u64_u32 v[12:13], null, v14, s27, v[0:1]
	s_waitcnt vmcnt(0)
	s_delay_alu instid0(VALU_DEP_4) | instskip(SKIP_1) | instid1(VALU_DEP_3)
	v_fma_f64 v[4:5], v[8:9], v[4:5], -v[10:11]
	v_add_nc_u32_e32 v8, 2, v3
	v_ashrrev_i32_e32 v13, 31, v12
	s_delay_alu instid0(VALU_DEP_1) | instskip(NEXT) | instid1(VALU_DEP_4)
	v_lshlrev_b64 v[12:13], 3, v[12:13]
	v_add_f64 v[4:5], v[6:7], v[4:5]
	s_delay_alu instid0(VALU_DEP_4) | instskip(NEXT) | instid1(VALU_DEP_1)
	v_mad_u64_u32 v[6:7], null, v8, s27, v[0:1]
	v_ashrrev_i32_e32 v7, 31, v6
	s_delay_alu instid0(VALU_DEP_1) | instskip(NEXT) | instid1(VALU_DEP_1)
	v_lshlrev_b64 v[6:7], 3, v[6:7]
	v_add_co_u32 v8, vcc_lo, s28, v6
	s_delay_alu instid0(VALU_DEP_2)
	v_add_co_ci_u32_e32 v9, vcc_lo, s29, v7, vcc_lo
	v_add_co_u32 v10, vcc_lo, s20, v6
	v_add_co_ci_u32_e32 v11, vcc_lo, s21, v7, vcc_lo
	v_add_co_u32 v14, vcc_lo, s28, v12
	;; [unrolled: 2-line block ×5, first 2 shown]
	v_add_co_ci_u32_e32 v13, vcc_lo, s25, v13, vcc_lo
	global_load_b64 v[14:15], v[14:15], off
	global_load_b64 v[16:17], v[16:17], off
	;; [unrolled: 1-line block ×6, first 2 shown]
	s_waitcnt vmcnt(4)
	v_mul_f64 v[14:15], v[14:15], v[16:17]
	s_waitcnt vmcnt(2)
	v_mul_f64 v[12:13], v[16:17], v[12:13]
	s_waitcnt vmcnt(1)
	s_delay_alu instid0(VALU_DEP_2) | instskip(SKIP_2) | instid1(VALU_DEP_3)
	v_fma_f64 v[8:9], v[8:9], v[10:11], -v[14:15]
	v_add_nc_u32_e32 v14, -3, v3
	s_waitcnt vmcnt(0)
	v_fma_f64 v[6:7], v[10:11], v[6:7], -v[12:13]
	s_delay_alu instid0(VALU_DEP_2) | instskip(NEXT) | instid1(VALU_DEP_1)
	v_mad_u64_u32 v[12:13], null, v14, s27, v[0:1]
	v_ashrrev_i32_e32 v13, 31, v12
	s_delay_alu instid0(VALU_DEP_1) | instskip(NEXT) | instid1(VALU_DEP_4)
	v_lshlrev_b64 v[12:13], 3, v[12:13]
	v_add_f64 v[6:7], v[8:9], v[6:7]
	v_add_nc_u32_e32 v8, 3, v3
	s_delay_alu instid0(VALU_DEP_2) | instskip(NEXT) | instid1(VALU_DEP_1)
	v_mul_f64 v[6:7], v[6:7], s[34:35]
	v_fma_f64 v[4:5], v[4:5], s[36:37], -v[6:7]
	s_delay_alu instid0(VALU_DEP_3) | instskip(NEXT) | instid1(VALU_DEP_1)
	v_mad_u64_u32 v[6:7], null, v8, s27, v[0:1]
	v_ashrrev_i32_e32 v7, 31, v6
	s_delay_alu instid0(VALU_DEP_1) | instskip(NEXT) | instid1(VALU_DEP_1)
	v_lshlrev_b64 v[6:7], 3, v[6:7]
	v_add_co_u32 v8, vcc_lo, s28, v6
	s_delay_alu instid0(VALU_DEP_2)
	v_add_co_ci_u32_e32 v9, vcc_lo, s29, v7, vcc_lo
	v_add_co_u32 v10, vcc_lo, s20, v6
	v_add_co_ci_u32_e32 v11, vcc_lo, s21, v7, vcc_lo
	v_add_co_u32 v14, vcc_lo, s28, v12
	;; [unrolled: 2-line block ×5, first 2 shown]
	v_add_co_ci_u32_e32 v13, vcc_lo, s25, v13, vcc_lo
	global_load_b64 v[14:15], v[14:15], off
	global_load_b64 v[16:17], v[16:17], off
	;; [unrolled: 1-line block ×6, first 2 shown]
	s_waitcnt vmcnt(4)
	v_mul_f64 v[14:15], v[14:15], v[16:17]
	s_waitcnt vmcnt(2)
	v_mul_f64 v[12:13], v[16:17], v[12:13]
	s_waitcnt vmcnt(1)
	s_delay_alu instid0(VALU_DEP_2) | instskip(SKIP_1) | instid1(VALU_DEP_2)
	v_fma_f64 v[8:9], v[8:9], v[10:11], -v[14:15]
	s_waitcnt vmcnt(0)
	v_fma_f64 v[6:7], v[10:11], v[6:7], -v[12:13]
	s_delay_alu instid0(VALU_DEP_1) | instskip(SKIP_2) | instid1(VALU_DEP_1)
	v_add_f64 v[6:7], v[8:9], v[6:7]
	v_add_nc_u32_e32 v8, 4, v3
	v_add_nc_u32_e32 v3, -4, v3
	v_mad_u64_u32 v[12:13], null, v3, s27, v[0:1]
	s_delay_alu instid0(VALU_DEP_1) | instskip(NEXT) | instid1(VALU_DEP_1)
	v_ashrrev_i32_e32 v13, 31, v12
	v_lshlrev_b64 v[12:13], 3, v[12:13]
	v_fma_f64 v[4:5], v[6:7], s[30:31], v[4:5]
	v_mad_u64_u32 v[6:7], null, v8, s27, v[0:1]
	s_delay_alu instid0(VALU_DEP_1) | instskip(NEXT) | instid1(VALU_DEP_1)
	v_ashrrev_i32_e32 v7, 31, v6
	v_lshlrev_b64 v[6:7], 3, v[6:7]
	s_delay_alu instid0(VALU_DEP_1) | instskip(NEXT) | instid1(VALU_DEP_2)
	v_add_co_u32 v8, vcc_lo, s28, v6
	v_add_co_ci_u32_e32 v9, vcc_lo, s29, v7, vcc_lo
	v_add_co_u32 v10, vcc_lo, s20, v6
	v_add_co_ci_u32_e32 v11, vcc_lo, s21, v7, vcc_lo
	;; [unrolled: 2-line block ×6, first 2 shown]
	global_load_b64 v[14:15], v[14:15], off
	global_load_b64 v[16:17], v[16:17], off
	;; [unrolled: 1-line block ×6, first 2 shown]
	v_add_co_u32 v0, vcc_lo, s4, v1
	v_add_co_ci_u32_e32 v1, vcc_lo, s5, v2, vcc_lo
	s_waitcnt vmcnt(4)
	v_mul_f64 v[14:15], v[14:15], v[16:17]
	s_waitcnt vmcnt(2)
	v_mul_f64 v[12:13], v[16:17], v[12:13]
	s_waitcnt vmcnt(1)
	s_delay_alu instid0(VALU_DEP_2) | instskip(SKIP_1) | instid1(VALU_DEP_2)
	v_fma_f64 v[8:9], v[8:9], v[10:11], -v[14:15]
	s_waitcnt vmcnt(0)
	v_fma_f64 v[6:7], v[10:11], v[6:7], -v[12:13]
	s_delay_alu instid0(VALU_DEP_1) | instskip(NEXT) | instid1(VALU_DEP_1)
	v_add_f64 v[6:7], v[8:9], v[6:7]
	v_fma_f64 v[3:4], v[6:7], s[10:11], v[4:5]
	global_load_b64 v[5:6], v[0:1], off
	s_waitcnt vmcnt(0)
	v_fma_f64 v[2:3], -v[3:4], s[0:1], v[5:6]
	global_store_b64 v[0:1], v[2:3], off
.LBB2_2:
	s_nop 0
	s_sendmsg sendmsg(MSG_DEALLOC_VGPRS)
	s_endpgm
	.section	.rodata,"a",@progbits
	.p2align	6, 0x0
	.amdhsa_kernel _Z9hypterm_3PdS_S_S_S_PKdS1_S1_S1_S1_S1_S1_S1_dddiii
		.amdhsa_group_segment_fixed_size 0
		.amdhsa_private_segment_fixed_size 0
		.amdhsa_kernarg_size 400
		.amdhsa_user_sgpr_count 13
		.amdhsa_user_sgpr_dispatch_ptr 0
		.amdhsa_user_sgpr_queue_ptr 0
		.amdhsa_user_sgpr_kernarg_segment_ptr 1
		.amdhsa_user_sgpr_dispatch_id 0
		.amdhsa_user_sgpr_private_segment_size 0
		.amdhsa_wavefront_size32 1
		.amdhsa_uses_dynamic_stack 0
		.amdhsa_enable_private_segment 0
		.amdhsa_system_sgpr_workgroup_id_x 1
		.amdhsa_system_sgpr_workgroup_id_y 1
		.amdhsa_system_sgpr_workgroup_id_z 1
		.amdhsa_system_sgpr_workgroup_info 0
		.amdhsa_system_vgpr_workitem_id 2
		.amdhsa_next_free_vgpr 62
		.amdhsa_next_free_sgpr 38
		.amdhsa_reserve_vcc 1
		.amdhsa_float_round_mode_32 0
		.amdhsa_float_round_mode_16_64 0
		.amdhsa_float_denorm_mode_32 3
		.amdhsa_float_denorm_mode_16_64 3
		.amdhsa_dx10_clamp 1
		.amdhsa_ieee_mode 1
		.amdhsa_fp16_overflow 0
		.amdhsa_workgroup_processor_mode 1
		.amdhsa_memory_ordered 1
		.amdhsa_forward_progress 0
		.amdhsa_shared_vgpr_count 0
		.amdhsa_exception_fp_ieee_invalid_op 0
		.amdhsa_exception_fp_denorm_src 0
		.amdhsa_exception_fp_ieee_div_zero 0
		.amdhsa_exception_fp_ieee_overflow 0
		.amdhsa_exception_fp_ieee_underflow 0
		.amdhsa_exception_fp_ieee_inexact 0
		.amdhsa_exception_int_div_zero 0
	.end_amdhsa_kernel
	.text
.Lfunc_end2:
	.size	_Z9hypterm_3PdS_S_S_S_PKdS1_S1_S1_S1_S1_S1_S1_dddiii, .Lfunc_end2-_Z9hypterm_3PdS_S_S_S_PKdS1_S1_S1_S1_S1_S1_S1_dddiii
                                        ; -- End function
	.section	.AMDGPU.csdata,"",@progbits
; Kernel info:
; codeLenInByte = 3284
; NumSgprs: 40
; NumVgprs: 62
; ScratchSize: 0
; MemoryBound: 0
; FloatMode: 240
; IeeeMode: 1
; LDSByteSize: 0 bytes/workgroup (compile time only)
; SGPRBlocks: 4
; VGPRBlocks: 7
; NumSGPRsForWavesPerEU: 40
; NumVGPRsForWavesPerEU: 62
; Occupancy: 16
; WaveLimiterHint : 0
; COMPUTE_PGM_RSRC2:SCRATCH_EN: 0
; COMPUTE_PGM_RSRC2:USER_SGPR: 13
; COMPUTE_PGM_RSRC2:TRAP_HANDLER: 0
; COMPUTE_PGM_RSRC2:TGID_X_EN: 1
; COMPUTE_PGM_RSRC2:TGID_Y_EN: 1
; COMPUTE_PGM_RSRC2:TGID_Z_EN: 1
; COMPUTE_PGM_RSRC2:TIDIG_COMP_CNT: 2
	.text
	.p2alignl 7, 3214868480
	.fill 96, 4, 3214868480
	.type	__hip_cuid_e3ab20f519346ca,@object ; @__hip_cuid_e3ab20f519346ca
	.section	.bss,"aw",@nobits
	.globl	__hip_cuid_e3ab20f519346ca
__hip_cuid_e3ab20f519346ca:
	.byte	0                               ; 0x0
	.size	__hip_cuid_e3ab20f519346ca, 1

	.ident	"AMD clang version 19.0.0git (https://github.com/RadeonOpenCompute/llvm-project roc-6.4.0 25133 c7fe45cf4b819c5991fe208aaa96edf142730f1d)"
	.section	".note.GNU-stack","",@progbits
	.addrsig
	.addrsig_sym __hip_cuid_e3ab20f519346ca
	.amdgpu_metadata
---
amdhsa.kernels:
  - .args:
      - .actual_access:  write_only
        .address_space:  global
        .offset:         0
        .size:           8
        .value_kind:     global_buffer
      - .actual_access:  write_only
        .address_space:  global
        .offset:         8
        .size:           8
        .value_kind:     global_buffer
      - .actual_access:  write_only
        .address_space:  global
        .offset:         16
        .size:           8
        .value_kind:     global_buffer
      - .actual_access:  write_only
        .address_space:  global
        .offset:         24
        .size:           8
        .value_kind:     global_buffer
      - .actual_access:  write_only
        .address_space:  global
        .offset:         32
        .size:           8
        .value_kind:     global_buffer
      - .actual_access:  read_only
        .address_space:  global
        .offset:         40
        .size:           8
        .value_kind:     global_buffer
      - .actual_access:  read_only
        .address_space:  global
        .offset:         48
        .size:           8
        .value_kind:     global_buffer
      - .actual_access:  read_only
        .address_space:  global
        .offset:         56
        .size:           8
        .value_kind:     global_buffer
      - .actual_access:  read_only
        .address_space:  global
        .offset:         64
        .size:           8
        .value_kind:     global_buffer
      - .actual_access:  read_only
        .address_space:  global
        .offset:         72
        .size:           8
        .value_kind:     global_buffer
      - .actual_access:  read_only
        .address_space:  global
        .offset:         80
        .size:           8
        .value_kind:     global_buffer
      - .actual_access:  read_only
        .address_space:  global
        .offset:         88
        .size:           8
        .value_kind:     global_buffer
      - .actual_access:  read_only
        .address_space:  global
        .offset:         96
        .size:           8
        .value_kind:     global_buffer
      - .offset:         104
        .size:           8
        .value_kind:     by_value
      - .offset:         112
        .size:           8
        .value_kind:     by_value
      - .offset:         120
        .size:           8
        .value_kind:     by_value
      - .offset:         128
        .size:           4
        .value_kind:     by_value
      - .offset:         132
        .size:           4
        .value_kind:     by_value
      - .offset:         136
        .size:           4
        .value_kind:     by_value
      - .offset:         144
        .size:           4
        .value_kind:     hidden_block_count_x
      - .offset:         148
        .size:           4
        .value_kind:     hidden_block_count_y
      - .offset:         152
        .size:           4
        .value_kind:     hidden_block_count_z
      - .offset:         156
        .size:           2
        .value_kind:     hidden_group_size_x
      - .offset:         158
        .size:           2
        .value_kind:     hidden_group_size_y
      - .offset:         160
        .size:           2
        .value_kind:     hidden_group_size_z
      - .offset:         162
        .size:           2
        .value_kind:     hidden_remainder_x
      - .offset:         164
        .size:           2
        .value_kind:     hidden_remainder_y
      - .offset:         166
        .size:           2
        .value_kind:     hidden_remainder_z
      - .offset:         184
        .size:           8
        .value_kind:     hidden_global_offset_x
      - .offset:         192
        .size:           8
        .value_kind:     hidden_global_offset_y
      - .offset:         200
        .size:           8
        .value_kind:     hidden_global_offset_z
      - .offset:         208
        .size:           2
        .value_kind:     hidden_grid_dims
    .group_segment_fixed_size: 0
    .kernarg_segment_align: 8
    .kernarg_segment_size: 400
    .language:       OpenCL C
    .language_version:
      - 2
      - 0
    .max_flat_workgroup_size: 1024
    .name:           _Z9hypterm_1PdS_S_S_S_PKdS1_S1_S1_S1_S1_S1_S1_dddiii
    .private_segment_fixed_size: 0
    .sgpr_count:     26
    .sgpr_spill_count: 0
    .symbol:         _Z9hypterm_1PdS_S_S_S_PKdS1_S1_S1_S1_S1_S1_S1_dddiii.kd
    .uniform_work_group_size: 1
    .uses_dynamic_stack: false
    .vgpr_count:     102
    .vgpr_spill_count: 0
    .wavefront_size: 32
    .workgroup_processor_mode: 1
  - .args:
      - .address_space:  global
        .offset:         0
        .size:           8
        .value_kind:     global_buffer
      - .address_space:  global
        .offset:         8
        .size:           8
        .value_kind:     global_buffer
      - .address_space:  global
        .offset:         16
        .size:           8
        .value_kind:     global_buffer
      - .address_space:  global
        .offset:         24
        .size:           8
        .value_kind:     global_buffer
      - .address_space:  global
        .offset:         32
        .size:           8
        .value_kind:     global_buffer
      - .actual_access:  read_only
        .address_space:  global
        .offset:         40
        .size:           8
        .value_kind:     global_buffer
      - .actual_access:  read_only
        .address_space:  global
        .offset:         48
        .size:           8
        .value_kind:     global_buffer
      - .actual_access:  read_only
        .address_space:  global
        .offset:         56
        .size:           8
        .value_kind:     global_buffer
      - .actual_access:  read_only
        .address_space:  global
        .offset:         64
        .size:           8
        .value_kind:     global_buffer
      - .actual_access:  read_only
        .address_space:  global
        .offset:         72
        .size:           8
        .value_kind:     global_buffer
      - .actual_access:  read_only
        .address_space:  global
        .offset:         80
        .size:           8
        .value_kind:     global_buffer
      - .actual_access:  read_only
        .address_space:  global
        .offset:         88
        .size:           8
        .value_kind:     global_buffer
      - .actual_access:  read_only
        .address_space:  global
        .offset:         96
        .size:           8
        .value_kind:     global_buffer
      - .offset:         104
        .size:           8
        .value_kind:     by_value
      - .offset:         112
        .size:           8
        .value_kind:     by_value
      - .offset:         120
        .size:           8
        .value_kind:     by_value
      - .offset:         128
        .size:           4
        .value_kind:     by_value
      - .offset:         132
        .size:           4
        .value_kind:     by_value
      - .offset:         136
        .size:           4
        .value_kind:     by_value
      - .offset:         144
        .size:           4
        .value_kind:     hidden_block_count_x
      - .offset:         148
        .size:           4
        .value_kind:     hidden_block_count_y
      - .offset:         152
        .size:           4
        .value_kind:     hidden_block_count_z
      - .offset:         156
        .size:           2
        .value_kind:     hidden_group_size_x
      - .offset:         158
        .size:           2
        .value_kind:     hidden_group_size_y
      - .offset:         160
        .size:           2
        .value_kind:     hidden_group_size_z
      - .offset:         162
        .size:           2
        .value_kind:     hidden_remainder_x
      - .offset:         164
        .size:           2
        .value_kind:     hidden_remainder_y
      - .offset:         166
        .size:           2
        .value_kind:     hidden_remainder_z
      - .offset:         184
        .size:           8
        .value_kind:     hidden_global_offset_x
      - .offset:         192
        .size:           8
        .value_kind:     hidden_global_offset_y
      - .offset:         200
        .size:           8
        .value_kind:     hidden_global_offset_z
      - .offset:         208
        .size:           2
        .value_kind:     hidden_grid_dims
    .group_segment_fixed_size: 0
    .kernarg_segment_align: 8
    .kernarg_segment_size: 400
    .language:       OpenCL C
    .language_version:
      - 2
      - 0
    .max_flat_workgroup_size: 1024
    .name:           _Z9hypterm_2PdS_S_S_S_PKdS1_S1_S1_S1_S1_S1_S1_dddiii
    .private_segment_fixed_size: 0
    .sgpr_count:     40
    .sgpr_spill_count: 0
    .symbol:         _Z9hypterm_2PdS_S_S_S_PKdS1_S1_S1_S1_S1_S1_S1_dddiii.kd
    .uniform_work_group_size: 1
    .uses_dynamic_stack: false
    .vgpr_count:     59
    .vgpr_spill_count: 0
    .wavefront_size: 32
    .workgroup_processor_mode: 1
  - .args:
      - .address_space:  global
        .offset:         0
        .size:           8
        .value_kind:     global_buffer
      - .address_space:  global
        .offset:         8
        .size:           8
        .value_kind:     global_buffer
      - .address_space:  global
        .offset:         16
        .size:           8
        .value_kind:     global_buffer
      - .address_space:  global
        .offset:         24
        .size:           8
        .value_kind:     global_buffer
      - .address_space:  global
        .offset:         32
        .size:           8
        .value_kind:     global_buffer
      - .actual_access:  read_only
        .address_space:  global
        .offset:         40
        .size:           8
        .value_kind:     global_buffer
      - .actual_access:  read_only
        .address_space:  global
        .offset:         48
        .size:           8
        .value_kind:     global_buffer
      - .actual_access:  read_only
        .address_space:  global
        .offset:         56
        .size:           8
        .value_kind:     global_buffer
      - .actual_access:  read_only
        .address_space:  global
        .offset:         64
        .size:           8
        .value_kind:     global_buffer
      - .actual_access:  read_only
        .address_space:  global
        .offset:         72
        .size:           8
        .value_kind:     global_buffer
      - .actual_access:  read_only
        .address_space:  global
        .offset:         80
        .size:           8
        .value_kind:     global_buffer
      - .actual_access:  read_only
        .address_space:  global
        .offset:         88
        .size:           8
        .value_kind:     global_buffer
      - .actual_access:  read_only
        .address_space:  global
        .offset:         96
        .size:           8
        .value_kind:     global_buffer
      - .offset:         104
        .size:           8
        .value_kind:     by_value
      - .offset:         112
        .size:           8
        .value_kind:     by_value
      - .offset:         120
        .size:           8
        .value_kind:     by_value
      - .offset:         128
        .size:           4
        .value_kind:     by_value
      - .offset:         132
        .size:           4
        .value_kind:     by_value
      - .offset:         136
        .size:           4
        .value_kind:     by_value
      - .offset:         144
        .size:           4
        .value_kind:     hidden_block_count_x
      - .offset:         148
        .size:           4
        .value_kind:     hidden_block_count_y
      - .offset:         152
        .size:           4
        .value_kind:     hidden_block_count_z
      - .offset:         156
        .size:           2
        .value_kind:     hidden_group_size_x
      - .offset:         158
        .size:           2
        .value_kind:     hidden_group_size_y
      - .offset:         160
        .size:           2
        .value_kind:     hidden_group_size_z
      - .offset:         162
        .size:           2
        .value_kind:     hidden_remainder_x
      - .offset:         164
        .size:           2
        .value_kind:     hidden_remainder_y
      - .offset:         166
        .size:           2
        .value_kind:     hidden_remainder_z
      - .offset:         184
        .size:           8
        .value_kind:     hidden_global_offset_x
      - .offset:         192
        .size:           8
        .value_kind:     hidden_global_offset_y
      - .offset:         200
        .size:           8
        .value_kind:     hidden_global_offset_z
      - .offset:         208
        .size:           2
        .value_kind:     hidden_grid_dims
    .group_segment_fixed_size: 0
    .kernarg_segment_align: 8
    .kernarg_segment_size: 400
    .language:       OpenCL C
    .language_version:
      - 2
      - 0
    .max_flat_workgroup_size: 1024
    .name:           _Z9hypterm_3PdS_S_S_S_PKdS1_S1_S1_S1_S1_S1_S1_dddiii
    .private_segment_fixed_size: 0
    .sgpr_count:     40
    .sgpr_spill_count: 0
    .symbol:         _Z9hypterm_3PdS_S_S_S_PKdS1_S1_S1_S1_S1_S1_S1_dddiii.kd
    .uniform_work_group_size: 1
    .uses_dynamic_stack: false
    .vgpr_count:     62
    .vgpr_spill_count: 0
    .wavefront_size: 32
    .workgroup_processor_mode: 1
amdhsa.target:   amdgcn-amd-amdhsa--gfx1100
amdhsa.version:
  - 1
  - 2
...

	.end_amdgpu_metadata
